;; amdgpu-corpus repo=ROCm/rocFFT kind=compiled arch=gfx1201 opt=O3
	.text
	.amdgcn_target "amdgcn-amd-amdhsa--gfx1201"
	.amdhsa_code_object_version 6
	.protected	bluestein_single_back_len224_dim1_sp_op_CI_CI ; -- Begin function bluestein_single_back_len224_dim1_sp_op_CI_CI
	.globl	bluestein_single_back_len224_dim1_sp_op_CI_CI
	.p2align	8
	.type	bluestein_single_back_len224_dim1_sp_op_CI_CI,@function
bluestein_single_back_len224_dim1_sp_op_CI_CI: ; @bluestein_single_back_len224_dim1_sp_op_CI_CI
; %bb.0:
	s_load_b128 s[16:19], s[0:1], 0x28
	v_lshrrev_b32_e32 v1, 4, v0
	v_mov_b32_e32 v71, 0
	s_mov_b32 s2, exec_lo
	s_delay_alu instid0(VALU_DEP_2) | instskip(SKIP_1) | instid1(VALU_DEP_1)
	v_lshl_or_b32 v70, ttmp9, 2, v1
	s_wait_kmcnt 0x0
	v_cmpx_gt_u64_e64 s[16:17], v[70:71]
	s_cbranch_execz .LBB0_2
; %bb.1:
	s_clause 0x1
	s_load_b128 s[4:7], s[0:1], 0x18
	s_load_b128 s[8:11], s[0:1], 0x0
	v_mul_u32_u24_e32 v88, 0xe0, v1
	s_wait_kmcnt 0x0
	s_load_b128 s[12:15], s[4:5], 0x0
	s_wait_kmcnt 0x0
	v_mad_co_u64_u32 v[2:3], null, s14, v70, 0
	v_and_b32_e32 v101, 15, v0
	s_lshl_b64 s[2:3], s[12:13], 8
	s_mul_i32 s4, s13, 0xfffffa80
	s_delay_alu instid0(SALU_CYCLE_1) | instskip(NEXT) | instid1(VALU_DEP_2)
	s_sub_co_i32 s4, s4, s12
	v_mov_b32_e32 v0, v3
	v_mad_co_u64_u32 v[4:5], null, s12, v101, 0
	v_lshlrev_b32_e32 v103, 3, v101
	v_or_b32_e32 v86, 48, v101
	v_or_b32_e32 v56, 64, v101
	;; [unrolled: 1-line block ×4, first 2 shown]
	global_load_b64 v[12:13], v103, s[8:9]
	v_mov_b32_e32 v3, v5
	v_mad_co_u64_u32 v[5:6], null, s15, v70, v[0:1]
	s_clause 0x4
	global_load_b64 v[14:15], v103, s[8:9] offset:512
	global_load_b64 v[16:17], v103, s[8:9] offset:1024
	;; [unrolled: 1-line block ×5, first 2 shown]
	v_mad_co_u64_u32 v[6:7], null, s13, v101, v[3:4]
	s_clause 0x1
	global_load_b64 v[24:25], v103, s[8:9] offset:256
	global_load_b64 v[22:23], v103, s[8:9] offset:128
	v_mov_b32_e32 v3, v5
	v_mul_u32_u24_e32 v1, 7, v101
	v_mul_lo_u16 v62, v86, 37
	v_mul_lo_u16 v61, 0x93, v56
	v_mov_b32_e32 v5, v6
	v_lshlrev_b64_e32 v[2:3], 3, v[2:3]
	v_add_lshl_u32 v104, v88, v1, 3
	v_lshrrev_b16 v45, 8, v62
	v_lshrrev_b16 v69, 10, v61
	v_lshlrev_b64_e32 v[4:5], 3, v[4:5]
	v_mul_lo_u16 v60, 0x93, v57
	v_add_co_u32 v0, vcc_lo, s18, v2
	v_add_co_ci_u32_e32 v3, vcc_lo, s19, v3, vcc_lo
	v_mul_lo_u16 v76, v45, 7
	s_delay_alu instid0(VALU_DEP_3) | instskip(SKIP_1) | instid1(VALU_DEP_3)
	v_add_co_u32 v2, vcc_lo, v0, v4
	s_wait_alu 0xfffd
	v_add_co_ci_u32_e32 v3, vcc_lo, v3, v5, vcc_lo
	v_or_b32_e32 v0, v88, v101
	s_delay_alu instid0(VALU_DEP_3) | instskip(SKIP_1) | instid1(VALU_DEP_3)
	v_add_co_u32 v4, vcc_lo, v2, s2
	s_wait_alu 0xfffd
	v_add_co_ci_u32_e32 v5, vcc_lo, s3, v3, vcc_lo
	global_load_b64 v[2:3], v[2:3], off
	v_add_co_u32 v6, vcc_lo, v4, s2
	s_wait_alu 0xfffd
	v_add_co_ci_u32_e32 v7, vcc_lo, s3, v5, vcc_lo
	global_load_b64 v[4:5], v[4:5], off
	v_add_co_u32 v8, vcc_lo, v6, s2
	s_wait_alu 0xfffd
	v_add_co_ci_u32_e32 v9, vcc_lo, s3, v7, vcc_lo
	s_clause 0x1
	global_load_b64 v[30:31], v103, s[8:9] offset:768
	global_load_b64 v[28:29], v103, s[8:9] offset:640
	global_load_b64 v[6:7], v[6:7], off
	v_add_co_u32 v10, vcc_lo, v8, s2
	s_wait_alu 0xfffd
	v_add_co_ci_u32_e32 v11, vcc_lo, s3, v9, vcc_lo
	global_load_b64 v[8:9], v[8:9], off
	global_load_b64 v[34:35], v103, s[8:9] offset:1280
	v_add_co_u32 v36, vcc_lo, v10, s2
	s_wait_alu 0xfffd
	v_add_co_ci_u32_e32 v37, vcc_lo, s3, v11, vcc_lo
	global_load_b64 v[32:33], v103, s[8:9] offset:1152
	v_add_co_u32 v38, vcc_lo, v36, s2
	s_wait_alu 0xfffd
	v_add_co_ci_u32_e32 v39, vcc_lo, s3, v37, vcc_lo
	global_load_b64 v[10:11], v[10:11], off
	global_load_b64 v[47:48], v[36:37], off
	v_lshlrev_b32_e32 v102, 3, v0
	v_sub_nc_u16 v85, v86, v76
	v_mad_co_u64_u32 v[40:41], null, 0xfffffa80, s12, v[38:39]
	global_load_b64 v[49:50], v[38:39], off
	v_mul_lo_u16 v77, v69, 7
	v_and_b32_e32 v91, 0xff, v85
	v_mul_lo_u16 v59, 0x93, v58
	v_lshrrev_b16 v80, 10, v60
	v_mad_u16 v45, v45, 14, v85
	v_add_nc_u32_e32 v41, s4, v41
	v_add_co_u32 v36, vcc_lo, v40, s2
	v_sub_nc_u16 v87, v56, v77
	v_lshrrev_b16 v81, 10, v59
	s_wait_alu 0xfffd
	v_add_co_ci_u32_e32 v37, vcc_lo, s3, v41, vcc_lo
	v_add_co_u32 v38, vcc_lo, v36, s2
	global_load_b64 v[51:52], v[40:41], off
	s_wait_alu 0xfffd
	v_add_co_ci_u32_e32 v39, vcc_lo, s3, v37, vcc_lo
	global_load_b64 v[53:54], v[36:37], off
	v_add_co_u32 v36, vcc_lo, v38, s2
	s_wait_alu 0xfffd
	v_add_co_ci_u32_e32 v37, vcc_lo, s3, v39, vcc_lo
	global_load_b64 v[63:64], v[38:39], off
	v_add_co_u32 v38, vcc_lo, v36, s2
	;; [unrolled: 4-line block ×4, first 2 shown]
	s_wait_alu 0xfffd
	v_add_co_ci_u32_e32 v43, vcc_lo, s3, v41, vcc_lo
	global_load_b64 v[36:37], v103, s[8:9] offset:1408
	global_load_b64 v[72:73], v[40:41], off
	global_load_b64 v[38:39], v103, s[8:9] offset:1664
	global_load_b64 v[74:75], v[42:43], off
	s_load_b128 s[4:7], s[6:7], 0x0
	v_mul_lo_u16 v40, v101, 37
	v_or_b32_e32 v43, 32, v101
	v_mul_lo_u16 v78, v80, 7
	v_mul_lo_u16 v79, v81, 7
	v_cmp_gt_u32_e32 vcc_lo, 14, v101
	v_lshrrev_b16 v46, 8, v40
	v_mul_lo_u16 v55, v43, 37
	v_sub_nc_u16 v78, v57, v78
	v_sub_nc_u16 v79, v58, v79
	s_delay_alu instid0(VALU_DEP_4) | instskip(NEXT) | instid1(VALU_DEP_4)
	v_mul_lo_u16 v0, v46, 7
	v_lshrrev_b16 v44, 8, v55
	s_delay_alu instid0(VALU_DEP_2) | instskip(NEXT) | instid1(VALU_DEP_2)
	v_sub_nc_u16 v82, v101, v0
	v_mul_lo_u16 v1, v44, 7
	s_wait_kmcnt 0x0
	v_mad_co_u64_u32 v[40:41], null, s6, v70, 0
	s_delay_alu instid0(VALU_DEP_2) | instskip(SKIP_2) | instid1(VALU_DEP_3)
	v_sub_nc_u16 v84, v43, v1
	v_and_b32_e32 v83, 0xff, v82
	v_mad_u16 v46, v46, 14, v82
	v_and_b32_e32 v90, 0xff, v84
	v_mov_b32_e32 v0, v41
	v_lshl_or_b32 v100, v88, 3, v103
	v_mad_u16 v44, v44, 14, v84
	v_and_b32_e32 v46, 0xff, v46
	s_delay_alu instid0(VALU_DEP_4) | instskip(SKIP_1) | instid1(VALU_DEP_3)
	v_mad_co_u64_u32 v[41:42], null, s7, v70, v[0:1]
	v_or_b32_e32 v70, 16, v101
	v_add_lshl_u32 v124, v88, v46, 3
	s_delay_alu instid0(VALU_DEP_2) | instskip(NEXT) | instid1(VALU_DEP_1)
	v_mul_lo_u16 v89, v70, 37
	v_lshrrev_b16 v42, 8, v89
	v_lshrrev_b16 v89, 9, v89
	s_delay_alu instid0(VALU_DEP_2) | instskip(SKIP_3) | instid1(VALU_DEP_2)
	v_mul_lo_u16 v92, v42, 7
	s_wait_loadcnt 0x13
	v_mul_f32_e32 v0, v3, v13
	v_mul_f32_e32 v1, v2, v13
	v_fmac_f32_e32 v0, v2, v12
	s_delay_alu instid0(VALU_DEP_2)
	v_fma_f32 v1, v3, v12, -v1
	s_wait_loadcnt 0x12
	v_dual_mul_f32 v2, v5, v25 :: v_dual_lshlrev_b32 v83, 3, v83
	ds_store_b64 v102, v[0:1]
	v_fmac_f32_e32 v2, v4, v24
	s_wait_loadcnt 0xf
	v_dual_mul_f32 v0, v7, v15 :: v_dual_mul_f32 v3, v4, v25
	s_wait_loadcnt 0xe
	v_mul_f32_e32 v4, v9, v31
	v_mul_f32_e32 v1, v6, v15
	s_delay_alu instid0(VALU_DEP_3) | instskip(SKIP_1) | instid1(VALU_DEP_4)
	v_fmac_f32_e32 v0, v6, v14
	v_fma_f32 v3, v5, v24, -v3
	v_fmac_f32_e32 v4, v8, v30
	s_delay_alu instid0(VALU_DEP_4)
	v_fma_f32 v1, v7, v14, -v1
	s_wait_loadcnt 0xb
	v_dual_mul_f32 v5, v8, v31 :: v_dual_mul_f32 v6, v11, v17
	s_wait_loadcnt 0xa
	v_dual_mul_f32 v7, v10, v17 :: v_dual_mul_f32 v8, v48, v35
	v_mul_f32_e32 v76, v47, v35
	s_delay_alu instid0(VALU_DEP_3) | instskip(SKIP_1) | instid1(VALU_DEP_4)
	v_fma_f32 v5, v9, v30, -v5
	v_fmac_f32_e32 v6, v10, v16
	v_fma_f32 v7, v11, v16, -v7
	s_wait_loadcnt 0x9
	v_dual_fmac_f32 v8, v47, v34 :: v_dual_mul_f32 v93, v49, v19
	s_wait_loadcnt 0x8
	v_mul_f32_e32 v47, v52, v23
	v_mul_f32_e32 v11, v51, v23
	s_wait_loadcnt 0x7
	v_dual_mul_f32 v10, v50, v19 :: v_dual_mul_f32 v77, v53, v21
	v_fma_f32 v9, v48, v34, -v76
	v_dual_fmac_f32 v47, v51, v22 :: v_dual_mul_f32 v76, v54, v21
	v_fma_f32 v48, v52, v22, -v11
	s_delay_alu instid0(VALU_DEP_4)
	v_fma_f32 v77, v54, v20, -v77
	v_fmac_f32_e32 v10, v49, v18
	v_fma_f32 v11, v50, v18, -v93
	v_fmac_f32_e32 v76, v53, v20
	ds_store_2addr_b64 v100, v[47:48], v[2:3] offset0:16 offset1:32
	s_wait_loadcnt 0x6
	v_mul_f32_e32 v2, v64, v29
	v_mul_f32_e32 v3, v63, v29
	s_wait_loadcnt 0x4
	v_mul_f32_e32 v47, v68, v33
	ds_store_2addr_b64 v100, v[76:77], v[0:1] offset0:48 offset1:64
	v_mul_f32_e32 v1, v65, v27
	v_mul_f32_e32 v0, v66, v27
	s_wait_loadcnt 0x2
	v_dual_fmac_f32 v2, v63, v28 :: v_dual_mul_f32 v49, v73, v37
	v_mul_f32_e32 v48, v67, v33
	s_delay_alu instid0(VALU_DEP_3)
	v_dual_fmac_f32 v47, v67, v32 :: v_dual_fmac_f32 v0, v65, v26
	s_wait_loadcnt 0x0
	v_dual_mul_f32 v51, v75, v39 :: v_dual_mul_f32 v50, v72, v37
	v_mul_f32_e32 v52, v74, v39
	v_fma_f32 v3, v64, v28, -v3
	v_fma_f32 v1, v66, v26, -v1
	v_fmac_f32_e32 v49, v72, v36
	v_fma_f32 v48, v68, v32, -v48
	v_fmac_f32_e32 v51, v74, v38
	v_fma_f32 v50, v73, v36, -v50
	v_and_b32_e32 v74, 0xff, v87
	v_lshlrev_b32_e32 v87, 3, v90
	v_fma_f32 v52, v75, v38, -v52
	ds_store_2addr_b64 v100, v[2:3], v[4:5] offset0:80 offset1:96
	ds_store_2addr_b64 v100, v[0:1], v[6:7] offset0:112 offset1:128
	;; [unrolled: 1-line block ×4, first 2 shown]
	ds_store_b64 v100, v[51:52] offset:1664
	global_wb scope:SCOPE_SE
	s_wait_dscnt 0x0
	s_barrier_signal -1
	s_barrier_wait -1
	global_inv scope:SCOPE_SE
	ds_load_2addr_b64 v[0:3], v100 offset0:16 offset1:32
	ds_load_2addr_b64 v[4:7], v100 offset0:176 offset1:192
	;; [unrolled: 1-line block ×6, first 2 shown]
	ds_load_b64 v[67:68], v100 offset:1664
	v_sub_nc_u16 v75, v70, v92
	v_mul_u32_u24_e32 v72, 7, v70
	v_and_b32_e32 v76, 0xff, v78
	v_and_b32_e32 v77, 0xff, v79
	s_delay_alu instid0(VALU_DEP_4) | instskip(NEXT) | instid1(VALU_DEP_4)
	v_and_b32_e32 v73, 0xff, v75
	v_add_lshl_u32 v112, v88, v72, 3
	s_wait_dscnt 0x5
	v_add_f32_e32 v78, v2, v6
	s_delay_alu instid0(VALU_DEP_3)
	v_lshlrev_b32_e32 v90, 3, v73
	ds_load_b64 v[72:73], v102
	v_add_f32_e32 v79, v3, v7
	v_dual_sub_f32 v3, v3, v7 :: v_dual_sub_f32 v2, v2, v6
	s_wait_dscnt 0x4
	v_dual_add_f32 v6, v10, v49 :: v_dual_add_f32 v7, v11, v50
	v_dual_sub_f32 v11, v11, v50 :: v_dual_sub_f32 v10, v10, v49
	s_wait_dscnt 0x2
	v_dual_add_f32 v49, v53, v65 :: v_dual_add_f32 v50, v54, v66
	;; [unrolled: 3-line block ×3, first 2 shown]
	v_dual_sub_f32 v8, v8, v67 :: v_dual_sub_f32 v9, v9, v68
	v_dual_add_f32 v67, v51, v4 :: v_dual_add_f32 v68, v52, v5
	v_dual_sub_f32 v4, v51, v4 :: v_dual_sub_f32 v5, v52, v5
	v_dual_add_f32 v51, v63, v47 :: v_dual_add_f32 v52, v64, v48
	;; [unrolled: 2-line block ×3, first 2 shown]
	v_dual_add_f32 v94, v53, v10 :: v_dual_add_f32 v95, v54, v11
	v_dual_sub_f32 v96, v53, v10 :: v_dual_sub_f32 v97, v54, v11
	v_dual_sub_f32 v10, v10, v2 :: v_dual_sub_f32 v11, v11, v3
	v_dual_add_f32 v98, v67, v65 :: v_dual_add_f32 v99, v68, v66
	v_dual_sub_f32 v92, v6, v78 :: v_dual_sub_f32 v93, v7, v79
	v_dual_sub_f32 v78, v78, v49 :: v_dual_sub_f32 v79, v79, v50
	;; [unrolled: 1-line block ×7, first 2 shown]
	v_dual_add_f32 v107, v47, v4 :: v_dual_add_f32 v108, v48, v5
	v_dual_sub_f32 v109, v47, v4 :: v_dual_sub_f32 v110, v48, v5
	v_dual_sub_f32 v4, v4, v8 :: v_dual_add_f32 v49, v49, v63
	v_dual_sub_f32 v5, v5, v9 :: v_dual_add_f32 v50, v50, v64
	v_mul_f32_e32 v79, 0x3f4a47b2, v79
	v_dual_mul_f32 v111, 0xbf5ff5aa, v10 :: v_dual_add_f32 v52, v52, v99
	v_dual_sub_f32 v47, v8, v47 :: v_dual_sub_f32 v48, v9, v48
	v_dual_add_f32 v63, v94, v2 :: v_dual_add_f32 v64, v95, v3
	v_dual_mul_f32 v78, 0x3f4a47b2, v78 :: v_dual_add_f32 v9, v108, v9
	v_dual_mul_f32 v94, 0x3d64c772, v6 :: v_dual_mul_f32 v95, 0x3d64c772, v7
	v_dual_mul_f32 v96, 0xbf08b237, v96 :: v_dual_mul_f32 v97, 0xbf08b237, v97
	v_dual_mul_f32 v113, 0xbf5ff5aa, v11 :: v_dual_add_f32 v8, v107, v8
	v_dual_add_f32 v51, v51, v98 :: v_dual_mul_f32 v98, 0x3d64c772, v67
	v_dual_mul_f32 v65, 0x3f4a47b2, v65 :: v_dual_mul_f32 v66, 0x3f4a47b2, v66
	s_wait_dscnt 0x0
	v_dual_mul_f32 v99, 0x3d64c772, v68 :: v_dual_add_f32 v2, v72, v49
	v_dual_mul_f32 v107, 0xbf08b237, v109 :: v_dual_mul_f32 v108, 0xbf08b237, v110
	v_dual_mul_f32 v109, 0xbf5ff5aa, v4 :: v_dual_mul_f32 v110, 0xbf5ff5aa, v5
	v_dual_add_f32 v3, v73, v50 :: v_dual_fmamk_f32 v6, v6, 0x3d64c772, v78
	v_add_f32_e32 v1, v1, v52
	v_dual_fmamk_f32 v7, v7, 0x3d64c772, v79 :: v_dual_add_f32 v0, v0, v51
	v_fma_f32 v72, 0x3f3bfb3b, v92, -v94
	v_fma_f32 v73, 0x3f3bfb3b, v93, -v95
	;; [unrolled: 1-line block ×4, first 2 shown]
	v_dual_fmamk_f32 v92, v53, 0x3eae86e6, v96 :: v_dual_fmamk_f32 v93, v54, 0x3eae86e6, v97
	v_fma_f32 v94, 0x3f5ff5aa, v10, -v96
	v_fma_f32 v10, 0x3f5ff5aa, v11, -v97
	v_dual_fmac_f32 v111, 0xbeae86e6, v53 :: v_dual_fmac_f32 v110, 0xbeae86e6, v48
	v_fmamk_f32 v96, v48, 0x3eae86e6, v108
	v_fma_f32 v97, 0x3f5ff5aa, v5, -v108
	v_fmamk_f32 v5, v50, 0xbf955555, v3
	v_fmamk_f32 v11, v67, 0x3d64c772, v65
	;; [unrolled: 1-line block ×3, first 2 shown]
	v_fma_f32 v67, 0x3f3bfb3b, v106, -v99
	v_fma_f32 v68, 0x3f5ff5aa, v4, -v107
	v_fmamk_f32 v48, v52, 0xbf955555, v1
	v_fmamk_f32 v4, v49, 0xbf955555, v2
	v_fmac_f32_e32 v113, 0xbeae86e6, v54
	v_fma_f32 v54, 0x3f3bfb3b, v105, -v98
	v_fma_f32 v66, 0xbf3bfb3b, v106, -v66
	v_fmamk_f32 v95, v47, 0x3eae86e6, v107
	v_dual_fmac_f32 v92, 0x3ee1c552, v63 :: v_dual_fmac_f32 v93, 0x3ee1c552, v64
	v_add_f32_e32 v67, v67, v48
	v_add_f32_e32 v49, v6, v4
	v_dual_fmac_f32 v109, 0xbeae86e6, v47 :: v_dual_add_f32 v98, v66, v48
	v_fmamk_f32 v47, v51, 0xbf955555, v0
	v_dual_fmac_f32 v10, 0x3ee1c552, v64 :: v_dual_fmac_f32 v111, 0x3ee1c552, v63
	v_dual_add_f32 v51, v72, v4 :: v_dual_add_f32 v52, v73, v5
	s_delay_alu instid0(VALU_DEP_3)
	v_add_f32_e32 v72, v11, v47
	v_add_f32_e32 v50, v7, v5
	v_dual_fmac_f32 v94, 0x3ee1c552, v63 :: v_dual_fmac_f32 v113, 0x3ee1c552, v64
	v_add_f32_e32 v63, v78, v4
	v_fma_f32 v65, 0xbf3bfb3b, v105, -v65
	v_add_f32_e32 v64, v79, v5
	v_fmac_f32_e32 v96, 0x3ee1c552, v9
	v_add_f32_e32 v4, v49, v93
	v_dual_add_f32 v78, v54, v47 :: v_dual_fmac_f32 v95, 0x3ee1c552, v8
	v_add_f32_e32 v6, v113, v63
	v_add_f32_e32 v73, v53, v48
	v_dual_fmac_f32 v68, 0x3ee1c552, v8 :: v_dual_fmac_f32 v97, 0x3ee1c552, v9
	v_dual_fmac_f32 v109, 0x3ee1c552, v8 :: v_dual_fmac_f32 v110, 0x3ee1c552, v9
	v_dual_add_f32 v79, v65, v47 :: v_dual_add_f32 v48, v111, v64
	v_dual_sub_f32 v5, v50, v92 :: v_dual_add_f32 v50, v92, v50
	s_delay_alu instid0(VALU_DEP_3)
	v_dual_sub_f32 v7, v64, v111 :: v_dual_sub_f32 v54, v98, v109
	v_sub_f32_e32 v8, v51, v10
	v_add_f32_e32 v10, v10, v51
	v_add_f32_e32 v9, v94, v52
	v_dual_sub_f32 v11, v52, v94 :: v_dual_sub_f32 v66, v67, v68
	v_dual_sub_f32 v47, v63, v113 :: v_dual_add_f32 v64, v68, v67
	v_sub_f32_e32 v49, v49, v93
	v_dual_add_f32 v51, v72, v96 :: v_dual_add_f32 v68, v109, v98
	v_sub_f32_e32 v52, v73, v95
	global_wb scope:SCOPE_SE
	s_barrier_signal -1
	s_barrier_wait -1
	global_inv scope:SCOPE_SE
	v_add_f32_e32 v53, v110, v79
	v_sub_f32_e32 v63, v78, v97
	v_add_f32_e32 v65, v97, v78
	v_dual_sub_f32 v67, v79, v110 :: v_dual_sub_f32 v72, v72, v96
	v_add_f32_e32 v73, v95, v73
	ds_store_2addr_b64 v104, v[2:3], v[4:5] offset1:1
	ds_store_2addr_b64 v104, v[6:7], v[8:9] offset0:2 offset1:3
	ds_store_2addr_b64 v104, v[10:11], v[47:48] offset0:4 offset1:5
	ds_store_b64 v104, v[49:50] offset:48
	ds_store_2addr_b64 v112, v[0:1], v[51:52] offset1:1
	ds_store_2addr_b64 v112, v[53:54], v[63:64] offset0:2 offset1:3
	ds_store_2addr_b64 v112, v[65:66], v[67:68] offset0:4 offset1:5
	ds_store_b64 v112, v[72:73] offset:48
	global_wb scope:SCOPE_SE
	s_wait_dscnt 0x0
	s_barrier_signal -1
	s_barrier_wait -1
	global_inv scope:SCOPE_SE
	s_clause 0x1
	global_load_b64 v[78:79], v83, s[10:11]
	global_load_b64 v[8:9], v87, s[10:11]
	v_lshlrev_b32_e32 v0, 3, v91
	global_load_b64 v[10:11], v90, s[10:11]
	v_lshlrev_b32_e32 v2, 3, v76
	v_lshrrev_b16 v87, 9, v55
	v_lshrrev_b16 v91, 11, v61
	global_load_b64 v[4:5], v0, s[10:11]
	v_lshlrev_b32_e32 v1, 3, v74
	v_lshlrev_b32_e32 v0, 3, v77
	s_clause 0x2
	global_load_b64 v[6:7], v1, s[10:11]
	global_load_b64 v[2:3], v2, s[10:11]
	;; [unrolled: 1-line block ×3, first 2 shown]
	v_mul_lo_u16 v52, v87, 14
	v_mul_lo_u16 v63, v91, 14
	v_add_co_u32 v47, s2, v101, -14
	v_and_b32_e32 v46, 0xff, v45
	s_delay_alu instid0(VALU_DEP_4) | instskip(NEXT) | instid1(VALU_DEP_4)
	v_sub_nc_u16 v94, v43, v52
	v_sub_nc_u16 v43, v56, v63
	s_wait_alu 0xfffd
	v_cndmask_b32_e32 v67, v47, v101, vcc_lo
	s_wait_alu 0xf1ff
	v_add_co_ci_u32_e64 v48, null, 0, -1, s2
	v_and_b32_e32 v52, 0xff, v94
	v_and_b32_e32 v85, 0xff, v43
	;; [unrolled: 1-line block ×3, first 2 shown]
	v_mul_lo_u16 v44, v89, 14
	v_cndmask_b32_e64 v68, v48, 0, vcc_lo
	v_lshlrev_b32_e32 v98, 3, v52
	v_mad_u16 v52, v42, 14, v75
	v_add_lshl_u32 v123, v88, v43, 3
	v_sub_nc_u16 v99, v70, v44
	ds_load_2addr_b64 v[42:45], v100 offset0:112 offset1:128
	v_lshrrev_b16 v92, 11, v60
	v_lshrrev_b16 v93, 11, v59
	v_lshlrev_b64_e32 v[47:48], 3, v[67:68]
	v_mul_lo_u16 v49, v69, 14
	v_mul_lo_u16 v50, v80, 14
	;; [unrolled: 1-line block ×5, first 2 shown]
	v_add_co_u32 v54, vcc_lo, s10, v47
	v_lshrrev_b16 v90, 9, v62
	s_wait_alu 0xfffd
	v_add_co_ci_u32_e32 v55, vcc_lo, s11, v48, vcc_lo
	v_and_b32_e32 v47, 0xffff, v49
	v_and_b32_e32 v48, 0xffff, v50
	;; [unrolled: 1-line block ×3, first 2 shown]
	v_sub_nc_u16 v50, v57, v64
	v_sub_nc_u16 v51, v58, v65
	v_mul_lo_u16 v53, v90, 14
	v_and_b32_e32 v64, 0xff, v52
	v_cmp_lt_u32_e32 vcc_lo, 13, v101
	v_and_b32_e32 v96, 0xff, v50
	v_and_b32_e32 v97, 0xff, v51
	v_add_nc_u32_e32 v50, v48, v76
	v_sub_nc_u16 v95, v86, v53
	v_lshrrev_b16 v59, 12, v59
	v_lshrrev_b16 v61, 12, v61
	s_delay_alu instid0(VALU_DEP_4) | instskip(NEXT) | instid1(VALU_DEP_4)
	v_add_lshl_u32 v120, v88, v50, 3
	v_and_b32_e32 v84, 0xff, v95
	s_delay_alu instid0(VALU_DEP_4) | instskip(NEXT) | instid1(VALU_DEP_4)
	v_mul_lo_u16 v59, v59, 28
	v_mul_lo_u16 v61, v61, 28
	s_delay_alu instid0(VALU_DEP_2) | instskip(NEXT) | instid1(VALU_DEP_2)
	v_sub_nc_u16 v58, v58, v59
	v_sub_nc_u16 v56, v56, v61
	v_mad_u16 v59, v87, 28, v94
	v_mad_u16 v61, v90, 28, v95
	s_wait_loadcnt_dscnt 0x600
	v_mul_f32_e32 v106, v43, v79
	v_mul_f32_e32 v107, v42, v79
	s_wait_loadcnt 0x4
	v_mul_f32_e32 v108, v45, v11
	v_mul_f32_e32 v109, v44, v11
	v_fma_f32 v42, v42, v78, -v106
	v_add_nc_u32_e32 v51, v49, v77
	s_delay_alu instid0(VALU_DEP_4) | instskip(NEXT) | instid1(VALU_DEP_2)
	v_fma_f32 v44, v44, v10, -v108
	v_add_lshl_u32 v119, v88, v51, 3
	ds_load_2addr_b64 v[50:53], v100 offset0:176 offset1:192
	s_wait_loadcnt_dscnt 0x100
	v_dual_mul_f32 v118, v52, v3 :: v_dual_add_nc_u32 v47, v47, v74
	s_delay_alu instid0(VALU_DEP_1)
	v_add_lshl_u32 v121, v88, v47, 3
	v_mul_f32_e32 v115, v51, v7
	v_add_lshl_u32 v122, v88, v46, 3
	ds_load_2addr_b64 v[46:49], v100 offset0:144 offset1:160
	v_mul_f32_e32 v116, v50, v7
	v_mul_f32_e32 v117, v53, v3
	v_add_lshl_u32 v125, v88, v64, 3
	v_fma_f32 v50, v50, v6, -v115
	v_fmac_f32_e32 v118, v53, v2
	v_fmac_f32_e32 v116, v51, v6
	v_fma_f32 v52, v52, v2, -v117
	s_wait_dscnt 0x0
	v_dual_mul_f32 v114, v48, v5 :: v_dual_and_b32 v63, 0xff, v99
	v_mul_f32_e32 v113, v49, v5
	v_mul_f32_e32 v110, v47, v9
	s_delay_alu instid0(VALU_DEP_3) | instskip(NEXT) | instid1(VALU_DEP_4)
	v_dual_mul_f32 v111, v46, v9 :: v_dual_fmac_f32 v114, v49, v4
	v_lshlrev_b32_e32 v105, 3, v63
	ds_load_b64 v[68:69], v102
	ds_load_b64 v[76:77], v100 offset:1664
	ds_load_2addr_b64 v[63:66], v100 offset0:16 offset1:32
	ds_load_2addr_b64 v[72:75], v100 offset0:48 offset1:64
	;; [unrolled: 1-line block ×3, first 2 shown]
	v_fma_f32 v48, v48, v4, -v113
	v_fmac_f32_e32 v107, v43, v78
	v_fmac_f32_e32 v109, v45, v10
	v_fma_f32 v46, v46, v8, -v110
	v_fmac_f32_e32 v111, v47, v8
	v_lshrrev_b16 v113, 10, v62
	v_mul_lo_u16 v62, v92, 28
	global_wb scope:SCOPE_SE
	s_wait_loadcnt_dscnt 0x0
	s_barrier_signal -1
	s_barrier_wait -1
	global_inv scope:SCOPE_SE
	v_and_b32_e32 v62, 0xffff, v62
	v_sub_f32_e32 v42, v68, v42
	v_mul_f32_e32 v126, v77, v1
	v_dual_sub_f32 v46, v65, v46 :: v_dual_mul_f32 v127, v76, v1
	v_dual_sub_f32 v48, v72, v48 :: v_dual_sub_f32 v43, v69, v107
	v_sub_f32_e32 v52, v80, v52
	s_delay_alu instid0(VALU_DEP_4) | instskip(NEXT) | instid1(VALU_DEP_4)
	v_fma_f32 v76, v76, v0, -v126
	v_dual_fmac_f32 v127, v77, v0 :: v_dual_sub_f32 v50, v74, v50
	v_dual_sub_f32 v44, v63, v44 :: v_dual_sub_f32 v45, v64, v109
	s_delay_alu instid0(VALU_DEP_3)
	v_sub_f32_e32 v76, v82, v76
	v_sub_f32_e32 v47, v66, v111
	;; [unrolled: 1-line block ×5, first 2 shown]
	v_fma_f32 v68, v68, 2.0, -v42
	v_fma_f32 v69, v69, 2.0, -v43
	v_lshrrev_b16 v114, 12, v60
	v_mul_lo_u16 v60, v91, 28
	v_sub_f32_e32 v53, v81, v118
	v_fma_f32 v63, v63, 2.0, -v44
	v_fma_f32 v64, v64, 2.0, -v45
	;; [unrolled: 1-line block ×3, first 2 shown]
	v_and_b32_e32 v60, 0xffff, v60
	v_fma_f32 v66, v66, 2.0, -v47
	v_fma_f32 v72, v72, 2.0, -v48
	v_fma_f32 v73, v73, 2.0, -v49
	v_fma_f32 v74, v74, 2.0, -v50
	v_fma_f32 v75, v75, 2.0, -v51
	v_fma_f32 v80, v80, 2.0, -v52
	v_fma_f32 v81, v81, 2.0, -v53
	v_fma_f32 v82, v82, 2.0, -v76
	v_fma_f32 v83, v83, 2.0, -v77
	ds_store_2addr_b64 v124, v[68:69], v[42:43] offset1:7
	ds_store_2addr_b64 v125, v[63:64], v[44:45] offset1:7
	;; [unrolled: 1-line block ×7, first 2 shown]
	v_lshlrev_b32_e32 v42, 3, v84
	s_wait_alu 0xfffd
	v_cndmask_b32_e64 v63, 0, 28, vcc_lo
	v_cmp_gt_u64_e32 vcc_lo, 28, v[70:71]
	v_add_co_u32 v64, s2, v101, -12
	v_lshlrev_b32_e32 v43, 3, v85
	v_lshlrev_b32_e32 v44, 3, v96
	global_wb scope:SCOPE_SE
	s_wait_dscnt 0x0
	s_wait_alu 0xfffd
	v_cndmask_b32_e32 v84, v64, v70, vcc_lo
	s_barrier_signal -1
	s_barrier_wait -1
	global_inv scope:SCOPE_SE
	s_clause 0x3
	global_load_b64 v[46:47], v[54:55], off offset:56
	global_load_b64 v[48:49], v105, s[10:11] offset:56
	global_load_b64 v[50:51], v98, s[10:11] offset:56
	;; [unrolled: 1-line block ×3, first 2 shown]
	v_lshlrev_b32_e32 v42, 3, v97
	s_clause 0x2
	global_load_b64 v[54:55], v43, s[10:11] offset:56
	global_load_b64 v[44:45], v44, s[10:11] offset:56
	;; [unrolled: 1-line block ×3, first 2 shown]
	s_wait_alu 0xf1ff
	v_add_co_ci_u32_e64 v65, null, 0, -1, s2
	v_add_nc_u32_e32 v63, v67, v63
	v_mul_lo_u16 v67, v114, 28
	v_and_b32_e32 v117, 0xff, v58
	v_add_nc_u32_e32 v58, v60, v85
	v_cndmask_b32_e64 v85, v65, 0, vcc_lo
	v_mul_lo_u16 v66, v113, 28
	v_sub_nc_u16 v57, v57, v67
	v_and_b32_e32 v95, 0xff, v56
	v_and_b32_e32 v56, 0xff, v59
	v_lshlrev_b64_e32 v[67:68], 3, v[84:85]
	v_sub_nc_u16 v115, v86, v66
	v_and_b32_e32 v116, 0xff, v57
	v_add_lshl_u32 v108, v88, v58, 3
	v_add_lshl_u32 v106, v88, v56, 3
	v_add_co_u32 v76, vcc_lo, s10, v67
	ds_load_2addr_b64 v[64:67], v100 offset0:176 offset1:192
	v_and_b32_e32 v57, 0xff, v61
	v_add_nc_u32_e32 v60, v62, v96
	v_mad_u16 v62, v89, 28, v99
	s_wait_alu 0xfffd
	v_add_co_ci_u32_e32 v77, vcc_lo, s11, v68, vcc_lo
	s_wait_loadcnt_dscnt 0x200
	v_mul_f32_e32 v129, v64, v55
	v_mul_f32_e32 v128, v65, v55
	v_add_lshl_u32 v107, v88, v57, 3
	ds_load_2addr_b64 v[56:59], v100 offset0:112 offset1:128
	s_wait_loadcnt 0x1
	v_mul_f32_e32 v130, v67, v45
	v_add_lshl_u32 v109, v88, v60, 3
	v_fma_f32 v64, v64, v54, -v128
	s_wait_dscnt 0x0
	v_mul_f32_e32 v98, v58, v49
	v_add_lshl_u32 v105, v88, v63, 3
	v_mul_lo_u16 v63, v93, 28
	v_and_b32_e32 v69, 0xff, v62
	s_delay_alu instid0(VALU_DEP_4) | instskip(SKIP_1) | instid1(VALU_DEP_4)
	v_dual_mul_f32 v85, v57, v47 :: v_dual_fmac_f32 v98, v59, v48
	v_mul_f32_e32 v96, v56, v47
	v_and_b32_e32 v63, 0xffff, v63
	s_delay_alu instid0(VALU_DEP_4) | instskip(NEXT) | instid1(VALU_DEP_4)
	v_add_lshl_u32 v111, v88, v69, 3
	v_fma_f32 v56, v56, v46, -v85
	s_delay_alu instid0(VALU_DEP_3) | instskip(SKIP_1) | instid1(VALU_DEP_2)
	v_dual_fmac_f32 v96, v57, v46 :: v_dual_add_nc_u32 v61, v63, v97
	v_mul_f32_e32 v97, v59, v49
	v_add_lshl_u32 v110, v88, v61, 3
	ds_load_2addr_b64 v[60:63], v100 offset0:144 offset1:160
	ds_load_b64 v[68:69], v102
	ds_load_b64 v[93:94], v100 offset:1664
	ds_load_2addr_b64 v[72:75], v100 offset0:16 offset1:32
	ds_load_2addr_b64 v[80:83], v100 offset0:48 offset1:64
	;; [unrolled: 1-line block ×3, first 2 shown]
	v_and_b32_e32 v87, 0xff, v115
	v_fma_f32 v58, v58, v48, -v97
	global_wb scope:SCOPE_SE
	s_wait_loadcnt_dscnt 0x0
	s_barrier_signal -1
	s_barrier_wait -1
	global_inv scope:SCOPE_SE
	v_sub_f32_e32 v56, v68, v56
	v_mul_f32_e32 v132, v94, v43
	v_mul_f32_e32 v133, v93, v43
	;; [unrolled: 1-line block ×7, first 2 shown]
	v_fma_f32 v60, v60, v50, -v99
	v_fmac_f32_e32 v118, v61, v50
	v_fma_f32 v62, v62, v52, -v126
	v_dual_fmac_f32 v127, v63, v52 :: v_dual_sub_f32 v58, v72, v58
	s_delay_alu instid0(VALU_DEP_4) | instskip(SKIP_1) | instid1(VALU_DEP_4)
	v_dual_fmac_f32 v129, v65, v54 :: v_dual_sub_f32 v60, v74, v60
	v_fma_f32 v66, v66, v44, -v130
	v_dual_fmac_f32 v131, v67, v44 :: v_dual_sub_f32 v62, v80, v62
	v_fma_f32 v85, v93, v42, -v132
	v_fmac_f32_e32 v133, v94, v42
	v_sub_f32_e32 v57, v69, v96
	v_dual_sub_f32 v59, v73, v98 :: v_dual_sub_f32 v64, v82, v64
	v_sub_f32_e32 v61, v75, v118
	v_sub_f32_e32 v63, v81, v127
	v_dual_sub_f32 v65, v83, v129 :: v_dual_sub_f32 v66, v89, v66
	v_sub_f32_e32 v67, v90, v131
	v_sub_f32_e32 v93, v91, v85
	;; [unrolled: 1-line block ×3, first 2 shown]
	v_fma_f32 v68, v68, 2.0, -v56
	v_fma_f32 v69, v69, 2.0, -v57
	;; [unrolled: 1-line block ×14, first 2 shown]
	ds_store_2addr_b64 v105, v[68:69], v[56:57] offset1:14
	ds_store_2addr_b64 v111, v[72:73], v[58:59] offset1:14
	;; [unrolled: 1-line block ×7, first 2 shown]
	v_lshlrev_b32_e32 v56, 3, v87
	global_wb scope:SCOPE_SE
	s_wait_dscnt 0x0
	s_barrier_signal -1
	s_barrier_wait -1
	global_inv scope:SCOPE_SE
	s_clause 0x3
	global_load_b64 v[60:61], v103, s[10:11] offset:168
	global_load_b64 v[64:65], v103, s[10:11] offset:200
	global_load_b64 v[62:63], v[76:77], off offset:168
	global_load_b64 v[66:67], v56, s[10:11] offset:168
	v_lshlrev_b32_e32 v57, 3, v95
	v_lshlrev_b32_e32 v58, 3, v116
	;; [unrolled: 1-line block ×3, first 2 shown]
	s_clause 0x2
	global_load_b64 v[68:69], v57, s[10:11] offset:168
	global_load_b64 v[58:59], v58, s[10:11] offset:168
	;; [unrolled: 1-line block ×3, first 2 shown]
	v_mov_b32_e32 v87, v71
	v_add_co_u32 v72, s2, v101, -8
	v_mad_u16 v75, v113, 56, v115
	s_wait_alu 0xf1ff
	v_add_co_ci_u32_e64 v73, null, 0, -1, s2
	v_cmp_gt_u64_e32 vcc_lo, 56, v[86:87]
	v_add_lshl_u32 v115, v88, v117, 3
	v_and_b32_e32 v81, 0xff, v75
	s_wait_alu 0xfffd
	v_cndmask_b32_e32 v97, v72, v86, vcc_lo
	v_mul_lo_u16 v72, v114, 56
	v_cndmask_b32_e64 v98, v73, 0, vcc_lo
	v_cmp_lt_u64_e32 vcc_lo, 27, v[70:71]
	v_add_lshl_u32 v114, v88, v95, 3
	s_delay_alu instid0(VALU_DEP_4)
	v_and_b32_e32 v74, 0xffff, v72
	ds_load_2addr_b64 v[70:73], v100 offset0:112 offset1:128
	s_wait_alu 0xfffd
	v_cndmask_b32_e64 v80, 0, 56, vcc_lo
	v_add_nc_u32_e32 v85, v74, v116
	ds_load_2addr_b64 v[74:77], v100 offset0:144 offset1:160
	v_add_lshl_u32 v116, v88, v81, 3
	v_add_nc_u32_e32 v84, v80, v84
	ds_load_2addr_b64 v[80:83], v100 offset0:176 offset1:192
	v_add_lshl_u32 v118, v88, v84, 3
	s_wait_loadcnt_dscnt 0x602
	v_mul_f32_e32 v113, v71, v61
	v_mul_f32_e32 v132, v70, v61
	s_wait_loadcnt 0x4
	v_mul_f32_e32 v134, v72, v63
	s_wait_loadcnt_dscnt 0x301
	v_mul_f32_e32 v138, v76, v67
	v_add_lshl_u32 v117, v88, v85, 3
	ds_load_b64 v[84:85], v102
	ds_load_b64 v[130:131], v100 offset:1664
	ds_load_2addr_b64 v[89:92], v100 offset0:16 offset1:32
	ds_load_2addr_b64 v[93:96], v100 offset0:48 offset1:64
	;; [unrolled: 1-line block ×3, first 2 shown]
	v_mul_f32_e32 v133, v73, v63
	v_dual_mul_f32 v135, v75, v65 :: v_dual_fmac_f32 v134, v73, v62
	v_dual_mul_f32 v136, v74, v65 :: v_dual_mul_f32 v137, v77, v67
	s_wait_loadcnt_dscnt 0x205
	v_dual_fmac_f32 v132, v71, v60 :: v_dual_mul_f32 v139, v81, v69
	v_mul_f32_e32 v140, v80, v69
	s_delay_alu instid0(VALU_DEP_3)
	v_fmac_f32_e32 v136, v75, v64
	s_wait_loadcnt 0x1
	v_dual_mul_f32 v141, v83, v59 :: v_dual_fmac_f32 v138, v77, v66
	v_mul_f32_e32 v142, v82, v59
	v_fma_f32 v70, v70, v60, -v113
	v_fma_f32 v74, v74, v64, -v135
	;; [unrolled: 1-line block ×3, first 2 shown]
	v_lshlrev_b64_e32 v[98:99], 3, v[97:98]
	s_wait_loadcnt_dscnt 0x3
	v_dual_mul_f32 v143, v131, v57 :: v_dual_fmac_f32 v140, v81, v68
	v_mul_f32_e32 v144, v130, v57
	v_fma_f32 v72, v72, v62, -v133
	v_fma_f32 v80, v80, v68, -v139
	;; [unrolled: 1-line block ×3, first 2 shown]
	v_dual_fmac_f32 v142, v83, v58 :: v_dual_sub_f32 v71, v85, v132
	v_fma_f32 v113, v130, v56, -v143
	s_wait_dscnt 0x2
	v_dual_fmac_f32 v144, v131, v56 :: v_dual_sub_f32 v73, v90, v134
	v_sub_f32_e32 v70, v84, v70
	s_wait_dscnt 0x1
	v_dual_sub_f32 v72, v89, v72 :: v_dual_sub_f32 v77, v94, v138
	v_dual_sub_f32 v74, v91, v74 :: v_dual_sub_f32 v75, v92, v136
	s_wait_dscnt 0x0
	v_dual_sub_f32 v76, v93, v76 :: v_dual_sub_f32 v83, v127, v142
	v_sub_f32_e32 v80, v95, v80
	v_dual_sub_f32 v81, v96, v140 :: v_dual_sub_f32 v82, v126, v82
	v_add_co_u32 v98, s2, s10, v98
	v_dual_sub_f32 v130, v128, v113 :: v_dual_sub_f32 v131, v129, v144
	v_fma_f32 v84, v84, 2.0, -v70
	v_fma_f32 v85, v85, 2.0, -v71
	;; [unrolled: 1-line block ×6, first 2 shown]
	s_wait_alu 0xf1ff
	v_add_co_ci_u32_e64 v99, vcc_lo, s11, v99, s2
	v_fma_f32 v93, v93, 2.0, -v76
	v_fma_f32 v94, v94, 2.0, -v77
	;; [unrolled: 1-line block ×4, first 2 shown]
	global_wb scope:SCOPE_SE
	s_barrier_signal -1
	s_barrier_wait -1
	global_inv scope:SCOPE_SE
	v_fma_f32 v126, v126, 2.0, -v82
	v_fma_f32 v127, v127, 2.0, -v83
	;; [unrolled: 1-line block ×4, first 2 shown]
	ds_store_2addr_b64 v102, v[84:85], v[70:71] offset1:28
	ds_store_2addr_b64 v118, v[89:90], v[72:73] offset1:28
	ds_store_2addr_b64 v102, v[91:92], v[74:75] offset0:60 offset1:88
	ds_store_2addr_b64 v116, v[93:94], v[76:77] offset1:28
	ds_store_2addr_b64 v114, v[95:96], v[80:81] offset0:112 offset1:140
	;; [unrolled: 2-line block ×3, first 2 shown]
	global_wb scope:SCOPE_SE
	s_wait_dscnt 0x0
	s_barrier_signal -1
	s_barrier_wait -1
	global_inv scope:SCOPE_SE
	s_clause 0x6
	global_load_b64 v[72:73], v103, s[10:11] offset:392
	global_load_b64 v[74:75], v103, s[10:11] offset:520
	;; [unrolled: 1-line block ×3, first 2 shown]
	global_load_b64 v[76:77], v[98:99], off offset:392
	global_load_b64 v[82:83], v103, s[10:11] offset:456
	global_load_b64 v[80:81], v103, s[10:11] offset:584
	;; [unrolled: 1-line block ×3, first 2 shown]
	ds_load_2addr_b64 v[89:92], v100 offset0:112 offset1:128
	ds_load_2addr_b64 v[93:96], v100 offset0:144 offset1:160
	v_cmp_lt_u64_e32 vcc_lo, 55, v[86:87]
	ds_load_2addr_b64 v[126:129], v100 offset0:176 offset1:192
	s_add_nc_u64 s[2:3], s[8:9], 0x700
	s_wait_alu 0xfffd
	v_cndmask_b32_e64 v86, 0, 0x70, vcc_lo
	s_wait_loadcnt_dscnt 0x502
	s_delay_alu instid0(VALU_DEP_1) | instskip(SKIP_2) | instid1(VALU_DEP_2)
	v_dual_mul_f32 v143, v91, v75 :: v_dual_add_nc_u32 v86, v86, v97
	s_wait_loadcnt_dscnt 0x401
	v_mul_f32_e32 v145, v93, v71
	v_add_lshl_u32 v113, v88, v86, 3
	ds_load_b64 v[86:87], v102
	ds_load_b64 v[97:98], v100 offset:1664
	ds_load_2addr_b64 v[130:133], v100 offset0:16 offset1:32
	ds_load_2addr_b64 v[134:137], v100 offset0:48 offset1:64
	ds_load_2addr_b64 v[138:141], v100 offset0:80 offset1:96
	v_dual_mul_f32 v88, v90, v73 :: v_dual_fmac_f32 v143, v92, v74
	v_dual_mul_f32 v99, v89, v73 :: v_dual_mul_f32 v142, v92, v75
	s_wait_loadcnt 0x3
	v_dual_mul_f32 v147, v95, v77 :: v_dual_mul_f32 v144, v94, v71
	s_wait_loadcnt_dscnt 0x105
	v_mul_f32_e32 v151, v128, v81
	v_dual_mul_f32 v146, v96, v77 :: v_dual_mul_f32 v149, v126, v83
	v_mul_f32_e32 v148, v127, v83
	v_dual_mul_f32 v150, v129, v81 :: v_dual_fmac_f32 v99, v90, v72
	v_fma_f32 v88, v89, v72, -v88
	v_fma_f32 v90, v91, v74, -v142
	;; [unrolled: 1-line block ×3, first 2 shown]
	v_fmac_f32_e32 v145, v94, v70
	s_wait_loadcnt_dscnt 0x3
	v_dual_mul_f32 v152, v98, v85 :: v_dual_fmac_f32 v147, v96, v76
	v_mul_f32_e32 v153, v97, v85
	v_fma_f32 v94, v95, v76, -v146
	v_fma_f32 v96, v126, v82, -v148
	v_dual_fmac_f32 v149, v127, v82 :: v_dual_sub_f32 v88, v86, v88
	v_fma_f32 v126, v128, v80, -v150
	s_wait_dscnt 0x2
	v_dual_fmac_f32 v151, v129, v80 :: v_dual_sub_f32 v90, v130, v90
	v_fma_f32 v127, v97, v84, -v152
	v_fmac_f32_e32 v153, v98, v84
	s_wait_dscnt 0x1
	v_dual_sub_f32 v89, v87, v99 :: v_dual_sub_f32 v94, v134, v94
	v_dual_sub_f32 v91, v131, v143 :: v_dual_sub_f32 v96, v136, v96
	;; [unrolled: 1-line block ×3, first 2 shown]
	s_wait_dscnt 0x0
	v_dual_sub_f32 v98, v138, v126 :: v_dual_sub_f32 v95, v135, v147
	v_sub_f32_e32 v97, v137, v149
	v_sub_f32_e32 v99, v139, v151
	v_dual_sub_f32 v126, v140, v127 :: v_dual_sub_f32 v127, v141, v153
	v_fma_f32 v86, v86, 2.0, -v88
	v_fma_f32 v87, v87, 2.0, -v89
	;; [unrolled: 1-line block ×6, first 2 shown]
	global_wb scope:SCOPE_SE
	s_barrier_signal -1
	s_barrier_wait -1
	global_inv scope:SCOPE_SE
	v_fma_f32 v132, v134, 2.0, -v94
	v_fma_f32 v133, v135, 2.0, -v95
	;; [unrolled: 1-line block ×8, first 2 shown]
	ds_store_2addr_b64 v102, v[86:87], v[88:89] offset1:56
	ds_store_b64 v100, v[128:129] offset:128
	ds_store_b64 v102, v[90:91] offset:576
	;; [unrolled: 1-line block ×4, first 2 shown]
	ds_store_2addr_b64 v113, v[132:133], v[94:95] offset1:56
	ds_store_2addr_b64 v102, v[134:135], v[136:137] offset0:120 offset1:136
	ds_store_2addr_b64 v102, v[138:139], v[96:97] offset0:152 offset1:176
	ds_store_2addr_b64 v102, v[98:99], v[126:127] offset0:192 offset1:208
	global_wb scope:SCOPE_SE
	s_wait_dscnt 0x0
	s_barrier_signal -1
	s_barrier_wait -1
	global_inv scope:SCOPE_SE
	s_clause 0x6
	global_load_b64 v[86:87], v103, s[10:11] offset:840
	global_load_b64 v[88:89], v103, s[10:11] offset:968
	;; [unrolled: 1-line block ×7, first 2 shown]
	ds_load_2addr_b64 v[126:129], v100 offset0:112 offset1:128
	ds_load_2addr_b64 v[130:133], v100 offset0:144 offset1:160
	;; [unrolled: 1-line block ×5, first 2 shown]
	s_wait_loadcnt_dscnt 0x504
	v_dual_mul_f32 v146, v127, v87 :: v_dual_mul_f32 v147, v129, v89
	s_wait_loadcnt_dscnt 0x403
	v_dual_mul_f32 v148, v128, v89 :: v_dual_mul_f32 v149, v131, v91
	v_mul_f32_e32 v150, v130, v91
	v_mul_f32_e32 v153, v126, v87
	s_wait_loadcnt_dscnt 0x202
	v_dual_mul_f32 v151, v133, v93 :: v_dual_mul_f32 v154, v135, v95
	v_fma_f32 v155, v126, v86, -v146
	v_fmac_f32_e32 v150, v131, v90
	v_fma_f32 v126, v128, v88, -v147
	v_fmac_f32_e32 v148, v129, v88
	s_wait_loadcnt 0x1
	v_mul_f32_e32 v128, v137, v97
	v_fma_f32 v129, v130, v90, -v149
	ds_load_b64 v[130:131], v100 offset:1664
	v_dual_mul_f32 v152, v132, v93 :: v_dual_fmac_f32 v153, v127, v86
	v_dual_mul_f32 v156, v136, v97 :: v_dual_mul_f32 v127, v134, v95
	v_fma_f32 v146, v132, v92, -v151
	s_delay_alu instid0(VALU_DEP_3)
	v_fmac_f32_e32 v152, v133, v92
	v_fma_f32 v147, v134, v94, -v154
	v_fma_f32 v149, v136, v96, -v128
	v_dual_fmac_f32 v127, v135, v94 :: v_dual_fmac_f32 v156, v137, v96
	s_wait_dscnt 0x2
	v_dual_sub_f32 v132, v138, v126 :: v_dual_sub_f32 v133, v139, v148
	v_dual_sub_f32 v134, v140, v129 :: v_dual_sub_f32 v135, v141, v150
	s_wait_dscnt 0x1
	v_dual_sub_f32 v136, v142, v146 :: v_dual_sub_f32 v137, v143, v152
	v_sub_f32_e32 v146, v144, v147
	v_fma_f32 v138, v138, 2.0, -v132
	v_fma_f32 v139, v139, 2.0, -v133
	s_wait_loadcnt_dscnt 0x0
	v_mul_f32_e32 v150, v130, v99
	v_sub_f32_e32 v147, v145, v127
	ds_load_2addr_b64 v[126:129], v100 offset0:80 offset1:96
	v_fma_f32 v140, v140, 2.0, -v134
	v_fma_f32 v141, v141, 2.0, -v135
	v_fmac_f32_e32 v150, v131, v98
	v_mul_f32_e32 v148, v131, v99
	v_fma_f32 v142, v142, 2.0, -v136
	v_fma_f32 v143, v143, 2.0, -v137
	;; [unrolled: 1-line block ×3, first 2 shown]
	s_delay_alu instid0(VALU_DEP_4)
	v_fma_f32 v148, v130, v98, -v148
	s_wait_dscnt 0x0
	v_dual_sub_f32 v130, v126, v149 :: v_dual_sub_f32 v149, v129, v150
	ds_load_b64 v[150:151], v102
	v_sub_f32_e32 v131, v127, v156
	v_sub_f32_e32 v148, v128, v148
	v_fma_f32 v144, v144, 2.0, -v146
	v_fma_f32 v126, v126, 2.0, -v130
	;; [unrolled: 1-line block ×5, first 2 shown]
	s_wait_dscnt 0x0
	v_dual_sub_f32 v152, v150, v155 :: v_dual_sub_f32 v153, v151, v153
	s_delay_alu instid0(VALU_DEP_1) | instskip(NEXT) | instid1(VALU_DEP_2)
	v_fma_f32 v150, v150, 2.0, -v152
	v_fma_f32 v151, v151, 2.0, -v153
	ds_store_b64 v102, v[150:151]
	ds_store_2addr_b64 v100, v[152:153], v[132:133] offset0:112 offset1:128
	ds_store_2addr_b64 v100, v[138:139], v[140:141] offset0:16 offset1:32
	;; [unrolled: 1-line block ×6, first 2 shown]
	ds_store_b64 v100, v[148:149] offset:1664
	global_wb scope:SCOPE_SE
	s_wait_dscnt 0x0
	s_barrier_signal -1
	s_barrier_wait -1
	global_inv scope:SCOPE_SE
	s_clause 0xb
	global_load_b64 v[126:127], v103, s[8:9] offset:1792
	global_load_b64 v[130:131], v103, s[2:3] offset:256
	;; [unrolled: 1-line block ×12, first 2 shown]
	ds_load_b64 v[128:129], v102
	s_wait_loadcnt_dscnt 0xb00
	v_mul_f32_e32 v152, v129, v127
	v_mul_f32_e32 v153, v128, v127
	s_delay_alu instid0(VALU_DEP_2) | instskip(NEXT) | instid1(VALU_DEP_2)
	v_fma_f32 v152, v128, v126, -v152
	v_fmac_f32_e32 v153, v129, v126
	ds_store_b64 v102, v[152:153]
	ds_load_2addr_b64 v[126:129], v100 offset0:16 offset1:32
	s_wait_loadcnt_dscnt 0xa00
	v_mul_f32_e32 v152, v129, v131
	v_mul_f32_e32 v153, v128, v131
	s_wait_loadcnt 0x9
	v_mul_f32_e32 v131, v126, v133
	s_delay_alu instid0(VALU_DEP_1) | instskip(SKIP_2) | instid1(VALU_DEP_1)
	v_fmac_f32_e32 v131, v127, v132
	v_fma_f32 v152, v128, v130, -v152
	v_dual_mul_f32 v128, v127, v133 :: v_dual_fmac_f32 v153, v129, v130
	v_fma_f32 v130, v126, v132, -v128
	ds_load_2addr_b64 v[126:129], v100 offset0:48 offset1:64
	s_wait_loadcnt_dscnt 0x800
	v_mul_f32_e32 v132, v129, v135
	v_mul_f32_e32 v133, v128, v135
	s_wait_loadcnt 0x7
	v_mul_f32_e32 v135, v126, v137
	s_delay_alu instid0(VALU_DEP_3) | instskip(NEXT) | instid1(VALU_DEP_3)
	v_fma_f32 v132, v128, v134, -v132
	v_dual_mul_f32 v128, v127, v137 :: v_dual_fmac_f32 v133, v129, v134
	s_delay_alu instid0(VALU_DEP_3) | instskip(NEXT) | instid1(VALU_DEP_2)
	v_fmac_f32_e32 v135, v127, v136
	v_fma_f32 v134, v126, v136, -v128
	ds_load_2addr_b64 v[126:129], v100 offset0:80 offset1:96
	s_wait_loadcnt_dscnt 0x600
	v_mul_f32_e32 v136, v129, v139
	v_mul_f32_e32 v137, v128, v139
	s_wait_loadcnt 0x5
	v_mul_f32_e32 v139, v126, v141
	s_delay_alu instid0(VALU_DEP_3) | instskip(NEXT) | instid1(VALU_DEP_3)
	v_fma_f32 v136, v128, v138, -v136
	v_dual_mul_f32 v128, v127, v141 :: v_dual_fmac_f32 v137, v129, v138
	s_delay_alu instid0(VALU_DEP_3) | instskip(NEXT) | instid1(VALU_DEP_2)
	v_fmac_f32_e32 v139, v127, v140
	;; [unrolled: 12-line block ×4, first 2 shown]
	v_fma_f32 v146, v126, v148, -v128
	ds_load_2addr_b64 v[126:129], v100 offset0:176 offset1:192
	s_wait_loadcnt_dscnt 0x0
	v_mul_f32_e32 v148, v129, v151
	v_mul_f32_e32 v149, v128, v151
	s_delay_alu instid0(VALU_DEP_2) | instskip(NEXT) | instid1(VALU_DEP_2)
	v_fma_f32 v148, v128, v150, -v148
	v_fmac_f32_e32 v149, v129, v150
	global_load_b64 v[128:129], v103, s[2:3] offset:1408
	s_wait_loadcnt 0x0
	v_mul_f32_e32 v150, v127, v129
	v_mul_f32_e32 v151, v126, v129
	s_delay_alu instid0(VALU_DEP_2) | instskip(NEXT) | instid1(VALU_DEP_2)
	v_fma_f32 v150, v126, v128, -v150
	v_fmac_f32_e32 v151, v127, v128
	global_load_b64 v[126:127], v103, s[2:3] offset:1664
	ds_load_b64 v[128:129], v100 offset:1664
	s_load_b64 s[2:3], s[0:1], 0x38
	s_lshl_b64 s[0:1], s[4:5], 8
	s_wait_loadcnt_dscnt 0x0
	v_mul_f32_e32 v103, v129, v127
	v_mul_f32_e32 v155, v128, v127
	s_delay_alu instid0(VALU_DEP_2) | instskip(NEXT) | instid1(VALU_DEP_2)
	v_fma_f32 v154, v128, v126, -v103
	v_fmac_f32_e32 v155, v129, v126
	ds_store_2addr_b64 v100, v[130:131], v[152:153] offset0:16 offset1:32
	ds_store_2addr_b64 v100, v[134:135], v[132:133] offset0:48 offset1:64
	;; [unrolled: 1-line block ×6, first 2 shown]
	ds_store_b64 v100, v[154:155] offset:1664
	global_wb scope:SCOPE_SE
	s_wait_dscnt 0x0
	s_wait_kmcnt 0x0
	s_barrier_signal -1
	s_barrier_wait -1
	global_inv scope:SCOPE_SE
	ds_load_2addr_b64 v[126:129], v100 offset0:48 offset1:64
	ds_load_2addr_b64 v[130:133], v100 offset0:144 offset1:160
	ds_load_b64 v[146:147], v100 offset:1664
	ds_load_2addr_b64 v[134:137], v100 offset0:176 offset1:192
	ds_load_2addr_b64 v[138:141], v100 offset0:80 offset1:96
	;; [unrolled: 1-line block ×3, first 2 shown]
	s_wait_dscnt 0x4
	v_add_f32_e32 v148, v129, v133
	s_wait_dscnt 0x3
	v_add_f32_e32 v150, v127, v147
	v_sub_f32_e32 v147, v127, v147
	v_sub_f32_e32 v133, v129, v133
	s_wait_dscnt 0x0
	v_add_f32_e32 v153, v143, v131
	v_add_f32_e32 v103, v128, v132
	;; [unrolled: 1-line block ×3, first 2 shown]
	v_sub_f32_e32 v146, v126, v146
	v_sub_f32_e32 v132, v128, v132
	ds_load_2addr_b64 v[126:129], v100 offset0:16 offset1:32
	v_add_f32_e32 v152, v139, v135
	v_sub_f32_e32 v131, v131, v143
	v_add_f32_e32 v143, v141, v145
	v_add_f32_e32 v151, v138, v134
	v_sub_f32_e32 v134, v138, v134
	v_add_f32_e32 v138, v142, v130
	v_sub_f32_e32 v130, v130, v142
	v_add_f32_e32 v142, v140, v144
	v_dual_sub_f32 v140, v144, v140 :: v_dual_sub_f32 v135, v139, v135
	s_delay_alu instid0(VALU_DEP_3) | instskip(NEXT) | instid1(VALU_DEP_2)
	v_sub_f32_e32 v160, v130, v134
	v_sub_f32_e32 v158, v140, v132
	s_wait_dscnt 0x0
	v_add_f32_e32 v144, v129, v137
	v_sub_f32_e32 v137, v129, v137
	v_add_f32_e32 v129, v152, v150
	v_sub_f32_e32 v141, v145, v141
	s_delay_alu instid0(VALU_DEP_2) | instskip(NEXT) | instid1(VALU_DEP_1)
	v_dual_add_f32 v154, v153, v129 :: v_dual_add_f32 v129, v148, v144
	v_dual_add_f32 v156, v143, v129 :: v_dual_add_f32 v139, v128, v136
	v_sub_f32_e32 v136, v128, v136
	v_add_f32_e32 v128, v151, v149
	s_delay_alu instid0(VALU_DEP_4) | instskip(NEXT) | instid1(VALU_DEP_4)
	v_add_f32_e32 v127, v127, v154
	v_sub_f32_e32 v157, v103, v139
	s_delay_alu instid0(VALU_DEP_3) | instskip(SKIP_2) | instid1(VALU_DEP_3)
	v_dual_add_f32 v145, v138, v128 :: v_dual_add_f32 v128, v103, v139
	v_sub_f32_e32 v139, v139, v142
	v_sub_f32_e32 v103, v142, v103
	v_add_f32_e32 v155, v142, v128
	ds_load_b64 v[128:129], v102
	v_sub_f32_e32 v142, v148, v144
	v_dual_sub_f32 v144, v144, v143 :: v_dual_sub_f32 v143, v143, v148
	v_dual_sub_f32 v148, v151, v149 :: v_dual_sub_f32 v149, v149, v138
	;; [unrolled: 1-line block ×3, first 2 shown]
	v_sub_f32_e32 v150, v150, v153
	v_dual_sub_f32 v152, v153, v152 :: v_dual_sub_f32 v161, v131, v135
	v_mul_f32_e32 v144, 0x3f4a47b2, v144
	global_wb scope:SCOPE_SE
	s_wait_dscnt 0x0
	s_barrier_signal -1
	s_barrier_wait -1
	global_inv scope:SCOPE_SE
	v_dual_add_f32 v128, v128, v155 :: v_dual_sub_f32 v159, v141, v133
	v_add_f32_e32 v153, v140, v132
	v_sub_f32_e32 v140, v136, v140
	v_sub_f32_e32 v132, v132, v136
	v_add_f32_e32 v129, v129, v156
	s_delay_alu instid0(VALU_DEP_4) | instskip(SKIP_3) | instid1(VALU_DEP_3)
	v_add_f32_e32 v136, v153, v136
	v_add_f32_e32 v153, v141, v133
	v_sub_f32_e32 v141, v137, v141
	v_sub_f32_e32 v133, v133, v137
	v_add_f32_e32 v137, v153, v137
	v_add_f32_e32 v153, v130, v134
	v_sub_f32_e32 v130, v146, v130
	v_sub_f32_e32 v134, v134, v146
	s_delay_alu instid0(VALU_DEP_3) | instskip(SKIP_2) | instid1(VALU_DEP_3)
	v_dual_add_f32 v146, v153, v146 :: v_dual_add_f32 v153, v131, v135
	v_dual_add_f32 v126, v126, v145 :: v_dual_sub_f32 v131, v147, v131
	v_sub_f32_e32 v135, v135, v147
	v_add_f32_e32 v147, v153, v147
	v_mul_f32_e32 v153, 0x3d64c772, v103
	s_delay_alu instid0(VALU_DEP_1) | instskip(SKIP_1) | instid1(VALU_DEP_1)
	v_fma_f32 v153, 0x3f3bfb3b, v157, -v153
	v_mul_f32_e32 v139, 0x3f4a47b2, v139
	v_fmamk_f32 v103, v103, 0x3d64c772, v139
	v_fma_f32 v139, 0xbf3bfb3b, v157, -v139
	v_mul_f32_e32 v157, 0x3d64c772, v143
	v_fmamk_f32 v143, v143, 0x3d64c772, v144
	s_delay_alu instid0(VALU_DEP_2) | instskip(SKIP_3) | instid1(VALU_DEP_2)
	v_fma_f32 v157, 0x3f3bfb3b, v142, -v157
	v_fma_f32 v142, 0xbf3bfb3b, v142, -v144
	v_mul_f32_e32 v144, 0x3f08b237, v158
	v_mul_f32_e32 v158, 0x3f5ff5aa, v132
	v_fma_f32 v162, 0xbf5ff5aa, v132, -v144
	v_fmamk_f32 v144, v140, 0xbeae86e6, v144
	s_delay_alu instid0(VALU_DEP_3) | instskip(SKIP_2) | instid1(VALU_DEP_4)
	v_fmac_f32_e32 v158, 0x3eae86e6, v140
	v_mul_f32_e32 v132, 0x3f08b237, v159
	v_mul_f32_e32 v140, 0x3f5ff5aa, v133
	v_fmac_f32_e32 v144, 0xbee1c552, v136
	s_delay_alu instid0(VALU_DEP_3) | instskip(SKIP_1) | instid1(VALU_DEP_4)
	v_fma_f32 v133, 0xbf5ff5aa, v133, -v132
	v_fmamk_f32 v159, v141, 0xbeae86e6, v132
	v_fmac_f32_e32 v140, 0x3eae86e6, v141
	v_mul_f32_e32 v132, 0x3f4a47b2, v149
	v_mul_f32_e32 v141, 0x3d64c772, v138
	s_delay_alu instid0(VALU_DEP_2) | instskip(NEXT) | instid1(VALU_DEP_2)
	v_dual_mul_f32 v149, 0x3d64c772, v152 :: v_dual_fmamk_f32 v138, v138, 0x3d64c772, v132
	v_fma_f32 v141, 0x3f3bfb3b, v148, -v141
	v_fma_f32 v132, 0xbf3bfb3b, v148, -v132
	v_mul_f32_e32 v148, 0x3f4a47b2, v150
	s_delay_alu instid0(VALU_DEP_4) | instskip(NEXT) | instid1(VALU_DEP_2)
	v_fma_f32 v149, 0x3f3bfb3b, v151, -v149
	v_fmamk_f32 v150, v152, 0x3d64c772, v148
	v_fma_f32 v148, 0xbf3bfb3b, v151, -v148
	v_mul_f32_e32 v151, 0x3f08b237, v160
	v_mul_f32_e32 v152, 0x3f5ff5aa, v134
	s_delay_alu instid0(VALU_DEP_2) | instskip(NEXT) | instid1(VALU_DEP_2)
	v_fma_f32 v160, 0xbf5ff5aa, v134, -v151
	v_fmac_f32_e32 v152, 0x3eae86e6, v130
	v_fmac_f32_e32 v140, 0xbee1c552, v137
	v_fmamk_f32 v163, v130, 0xbeae86e6, v151
	v_mul_f32_e32 v130, 0x3f08b237, v161
	v_dual_fmac_f32 v158, 0xbee1c552, v136 :: v_dual_fmac_f32 v133, 0xbee1c552, v137
	s_delay_alu instid0(VALU_DEP_3) | instskip(NEXT) | instid1(VALU_DEP_3)
	v_fmac_f32_e32 v163, 0xbee1c552, v146
	v_fma_f32 v161, 0xbf5ff5aa, v135, -v130
	v_fmamk_f32 v164, v131, 0xbeae86e6, v130
	v_fmac_f32_e32 v160, 0xbee1c552, v146
	v_fmamk_f32 v130, v155, 0xbf955555, v128
	s_delay_alu instid0(VALU_DEP_4) | instskip(SKIP_1) | instid1(VALU_DEP_1)
	v_fmac_f32_e32 v161, 0xbee1c552, v147
	v_mul_f32_e32 v151, 0x3f5ff5aa, v135
	v_fmac_f32_e32 v151, 0x3eae86e6, v131
	s_delay_alu instid0(VALU_DEP_4) | instskip(SKIP_1) | instid1(VALU_DEP_2)
	v_dual_fmamk_f32 v131, v154, 0xbf955555, v127 :: v_dual_add_f32 v134, v153, v130
	v_fmac_f32_e32 v152, 0xbee1c552, v146
	v_add_f32_e32 v154, v150, v131
	v_dual_fmac_f32 v164, 0xbee1c552, v147 :: v_dual_add_f32 v103, v103, v130
	v_add_f32_e32 v150, v148, v131
	v_dual_fmac_f32 v162, 0xbee1c552, v136 :: v_dual_fmac_f32 v159, 0xbee1c552, v137
	v_add_f32_e32 v136, v139, v130
	v_fmamk_f32 v130, v156, 0xbf955555, v129
	v_add_f32_e32 v146, v149, v131
	s_delay_alu instid0(VALU_DEP_2) | instskip(NEXT) | instid1(VALU_DEP_1)
	v_add_f32_e32 v135, v157, v130
	v_add_f32_e32 v131, v162, v135
	;; [unrolled: 1-line block ×3, first 2 shown]
	v_dual_add_f32 v137, v142, v130 :: v_dual_fmamk_f32 v130, v145, 0xbf955555, v126
	s_delay_alu instid0(VALU_DEP_2) | instskip(NEXT) | instid1(VALU_DEP_2)
	v_sub_f32_e32 v139, v143, v144
	v_add_f32_e32 v145, v141, v130
	v_add_f32_e32 v149, v132, v130
	v_dual_add_f32 v141, v144, v143 :: v_dual_add_f32 v132, v133, v134
	s_delay_alu instid0(VALU_DEP_3) | instskip(SKIP_4) | instid1(VALU_DEP_4)
	v_dual_add_f32 v143, v160, v146 :: v_dual_add_f32 v144, v161, v145
	v_fmac_f32_e32 v151, 0xbee1c552, v147
	v_dual_add_f32 v153, v138, v130 :: v_dual_add_f32 v138, v103, v159
	v_sub_f32_e32 v130, v134, v133
	v_add_f32_e32 v134, v140, v136
	v_sub_f32_e32 v148, v149, v151
	v_sub_f32_e32 v136, v136, v140
	;; [unrolled: 1-line block ×3, first 2 shown]
	v_dual_sub_f32 v133, v135, v162 :: v_dual_sub_f32 v142, v145, v161
	v_dual_sub_f32 v145, v146, v160 :: v_dual_add_f32 v146, v151, v149
	v_sub_f32_e32 v135, v137, v158
	v_add_f32_e32 v137, v158, v137
	v_sub_f32_e32 v147, v150, v152
	v_dual_add_f32 v149, v152, v150 :: v_dual_add_f32 v150, v153, v164
	v_dual_sub_f32 v151, v154, v163 :: v_dual_sub_f32 v152, v153, v164
	v_add_f32_e32 v153, v163, v154
	ds_store_2addr_b64 v104, v[128:129], v[138:139] offset1:1
	ds_store_2addr_b64 v104, v[134:135], v[130:131] offset0:2 offset1:3
	ds_store_2addr_b64 v104, v[132:133], v[136:137] offset0:4 offset1:5
	ds_store_b64 v104, v[140:141] offset:48
	ds_store_2addr_b64 v112, v[126:127], v[150:151] offset1:1
	ds_store_2addr_b64 v112, v[146:147], v[142:143] offset0:2 offset1:3
	ds_store_2addr_b64 v112, v[144:145], v[148:149] offset0:4 offset1:5
	ds_store_b64 v112, v[152:153] offset:48
	global_wb scope:SCOPE_SE
	s_wait_dscnt 0x0
	s_barrier_signal -1
	s_barrier_wait -1
	global_inv scope:SCOPE_SE
	ds_load_2addr_b64 v[126:129], v100 offset0:112 offset1:128
	ds_load_2addr_b64 v[130:133], v100 offset0:144 offset1:160
	;; [unrolled: 1-line block ×5, first 2 shown]
	ds_load_b64 v[103:104], v102
	ds_load_b64 v[150:151], v100 offset:1664
	ds_load_2addr_b64 v[146:149], v100 offset0:80 offset1:96
	global_wb scope:SCOPE_SE
	s_wait_dscnt 0x0
	s_barrier_signal -1
	s_barrier_wait -1
	global_inv scope:SCOPE_SE
	v_mul_f32_e32 v152, v11, v129
	v_mul_f32_e32 v11, v11, v128
	;; [unrolled: 1-line block ×3, first 2 shown]
	s_delay_alu instid0(VALU_DEP_3) | instskip(NEXT) | instid1(VALU_DEP_3)
	v_fmac_f32_e32 v152, v10, v128
	v_fma_f32 v10, v10, v129, -v11
	s_delay_alu instid0(VALU_DEP_3) | instskip(SKIP_3) | instid1(VALU_DEP_4)
	v_dual_mul_f32 v11, v5, v133 :: v_dual_fmac_f32 v112, v78, v126
	v_mul_f32_e32 v128, v1, v151
	v_mul_f32_e32 v5, v5, v132
	;; [unrolled: 1-line block ×3, first 2 shown]
	v_fmac_f32_e32 v11, v4, v132
	v_mul_f32_e32 v79, v79, v126
	v_mul_f32_e32 v126, v7, v135
	;; [unrolled: 1-line block ×3, first 2 shown]
	v_fmac_f32_e32 v128, v0, v150
	s_delay_alu instid0(VALU_DEP_3) | instskip(NEXT) | instid1(VALU_DEP_3)
	v_fmac_f32_e32 v126, v6, v134
	v_fma_f32 v129, v6, v135, -v7
	v_sub_f32_e32 v6, v142, v11
	v_fma_f32 v78, v78, v127, -v79
	v_mul_f32_e32 v127, v3, v137
	v_mul_f32_e32 v79, v9, v131
	;; [unrolled: 1-line block ×3, first 2 shown]
	s_delay_alu instid0(VALU_DEP_3) | instskip(SKIP_1) | instid1(VALU_DEP_4)
	v_fmac_f32_e32 v127, v2, v136
	v_mul_f32_e32 v9, v9, v130
	v_fmac_f32_e32 v79, v8, v130
	s_delay_alu instid0(VALU_DEP_4) | instskip(NEXT) | instid1(VALU_DEP_4)
	v_fma_f32 v130, v2, v137, -v3
	v_dual_sub_f32 v3, v139, v10 :: v_dual_sub_f32 v10, v146, v127
	s_delay_alu instid0(VALU_DEP_4)
	v_fma_f32 v8, v8, v131, -v9
	v_fma_f32 v9, v4, v133, -v5
	;; [unrolled: 1-line block ×3, first 2 shown]
	v_dual_sub_f32 v0, v103, v112 :: v_dual_sub_f32 v1, v104, v78
	v_sub_f32_e32 v2, v138, v152
	v_dual_sub_f32 v4, v140, v79 :: v_dual_sub_f32 v5, v141, v8
	v_dual_sub_f32 v7, v143, v9 :: v_dual_sub_f32 v8, v144, v126
	v_sub_f32_e32 v9, v145, v129
	v_dual_sub_f32 v11, v147, v130 :: v_dual_sub_f32 v78, v148, v128
	v_sub_f32_e32 v79, v149, v131
	v_fma_f32 v103, v103, 2.0, -v0
	v_fma_f32 v104, v104, 2.0, -v1
	;; [unrolled: 1-line block ×14, first 2 shown]
	ds_store_2addr_b64 v124, v[103:104], v[0:1] offset1:7
	ds_store_2addr_b64 v125, v[126:127], v[2:3] offset1:7
	;; [unrolled: 1-line block ×7, first 2 shown]
	global_wb scope:SCOPE_SE
	s_wait_dscnt 0x0
	s_barrier_signal -1
	s_barrier_wait -1
	global_inv scope:SCOPE_SE
	ds_load_2addr_b64 v[0:3], v100 offset0:112 offset1:128
	ds_load_2addr_b64 v[4:7], v100 offset0:144 offset1:160
	;; [unrolled: 1-line block ×3, first 2 shown]
	ds_load_b64 v[103:104], v102
	ds_load_b64 v[131:132], v100 offset:1664
	ds_load_2addr_b64 v[119:122], v100 offset0:16 offset1:32
	ds_load_2addr_b64 v[123:126], v100 offset0:48 offset1:64
	;; [unrolled: 1-line block ×3, first 2 shown]
	v_mad_co_u64_u32 v[78:79], null, s4, v101, 0
	global_wb scope:SCOPE_SE
	s_wait_dscnt 0x0
	s_barrier_signal -1
	s_barrier_wait -1
	global_inv scope:SCOPE_SE
	v_mul_f32_e32 v112, v47, v1
	v_mul_f32_e32 v47, v47, v0
	;; [unrolled: 1-line block ×3, first 2 shown]
	v_dual_mul_f32 v49, v49, v2 :: v_dual_mul_f32 v134, v51, v5
	v_mul_f32_e32 v51, v51, v4
	v_mul_f32_e32 v135, v53, v7
	v_dual_mul_f32 v53, v53, v6 :: v_dual_mul_f32 v136, v55, v9
	v_mul_f32_e32 v55, v55, v8
	v_mul_f32_e32 v137, v45, v11
	v_dual_mul_f32 v45, v45, v10 :: v_dual_mul_f32 v138, v43, v132
	v_dual_mul_f32 v43, v43, v131 :: v_dual_fmac_f32 v112, v46, v0
	v_fma_f32 v1, v46, v1, -v47
	v_fmac_f32_e32 v133, v48, v2
	v_fma_f32 v3, v48, v3, -v49
	v_fmac_f32_e32 v134, v50, v4
	;; [unrolled: 2-line block ×6, first 2 shown]
	v_fma_f32 v43, v42, v132, -v43
	v_dual_sub_f32 v0, v103, v112 :: v_dual_sub_f32 v1, v104, v1
	v_dual_sub_f32 v2, v119, v133 :: v_dual_sub_f32 v3, v120, v3
	v_dual_sub_f32 v4, v121, v134 :: v_dual_sub_f32 v5, v122, v5
	v_sub_f32_e32 v6, v123, v135
	v_dual_sub_f32 v7, v124, v7 :: v_dual_sub_f32 v8, v125, v136
	v_sub_f32_e32 v9, v126, v9
	v_dual_sub_f32 v10, v127, v137 :: v_dual_sub_f32 v11, v128, v11
	v_dual_sub_f32 v42, v129, v138 :: v_dual_sub_f32 v43, v130, v43
	v_fma_f32 v44, v103, 2.0, -v0
	v_fma_f32 v45, v104, 2.0, -v1
	;; [unrolled: 1-line block ×14, first 2 shown]
	ds_store_2addr_b64 v105, v[44:45], v[0:1] offset1:14
	ds_store_2addr_b64 v111, v[46:47], v[2:3] offset1:14
	;; [unrolled: 1-line block ×7, first 2 shown]
	global_wb scope:SCOPE_SE
	s_wait_dscnt 0x0
	s_barrier_signal -1
	s_barrier_wait -1
	global_inv scope:SCOPE_SE
	ds_load_2addr_b64 v[0:3], v100 offset0:112 offset1:128
	ds_load_2addr_b64 v[4:7], v100 offset0:144 offset1:160
	v_mov_b32_e32 v42, v79
	ds_load_2addr_b64 v[8:11], v100 offset0:176 offset1:192
	v_mad_co_u64_u32 v[54:55], null, s5, v101, v[42:43]
	ds_load_b64 v[103:104], v102
	ds_load_b64 v[105:106], v100 offset:1664
	ds_load_2addr_b64 v[42:45], v100 offset0:16 offset1:32
	ds_load_2addr_b64 v[46:49], v100 offset0:48 offset1:64
	;; [unrolled: 1-line block ×3, first 2 shown]
	global_wb scope:SCOPE_SE
	s_wait_dscnt 0x0
	s_barrier_signal -1
	s_barrier_wait -1
	global_inv scope:SCOPE_SE
	v_mul_f32_e32 v55, v61, v1
	v_mul_f32_e32 v61, v61, v0
	;; [unrolled: 1-line block ×7, first 2 shown]
	v_dual_mul_f32 v67, v67, v6 :: v_dual_mul_f32 v108, v69, v9
	v_mul_f32_e32 v69, v69, v8
	v_mul_f32_e32 v109, v59, v11
	;; [unrolled: 1-line block ×5, first 2 shown]
	v_fmac_f32_e32 v55, v60, v0
	v_fma_f32 v1, v60, v1, -v61
	v_fmac_f32_e32 v79, v62, v2
	v_fma_f32 v3, v62, v3, -v63
	;; [unrolled: 2-line block ×7, first 2 shown]
	v_dual_sub_f32 v0, v103, v55 :: v_dual_sub_f32 v1, v104, v1
	v_sub_f32_e32 v2, v42, v79
	v_dual_sub_f32 v3, v43, v3 :: v_dual_sub_f32 v4, v44, v101
	v_dual_sub_f32 v5, v45, v5 :: v_dual_sub_f32 v6, v46, v107
	;; [unrolled: 1-line block ×3, first 2 shown]
	v_sub_f32_e32 v9, v49, v9
	v_dual_sub_f32 v10, v50, v109 :: v_dual_sub_f32 v11, v51, v11
	v_dual_sub_f32 v55, v52, v110 :: v_dual_sub_f32 v56, v53, v56
	v_fma_f32 v57, v103, 2.0, -v0
	v_fma_f32 v58, v104, 2.0, -v1
	;; [unrolled: 1-line block ×14, first 2 shown]
	ds_store_2addr_b64 v102, v[57:58], v[0:1] offset1:28
	ds_store_2addr_b64 v118, v[42:43], v[2:3] offset1:28
	ds_store_2addr_b64 v102, v[44:45], v[4:5] offset0:60 offset1:88
	ds_store_2addr_b64 v116, v[46:47], v[6:7] offset1:28
	ds_store_2addr_b64 v114, v[48:49], v[8:9] offset0:112 offset1:140
	;; [unrolled: 2-line block ×3, first 2 shown]
	global_wb scope:SCOPE_SE
	s_wait_dscnt 0x0
	s_barrier_signal -1
	s_barrier_wait -1
	global_inv scope:SCOPE_SE
	ds_load_2addr_b64 v[0:3], v100 offset0:112 offset1:128
	v_lshlrev_b64_e32 v[51:52], 3, v[40:41]
	ds_load_2addr_b64 v[4:7], v100 offset0:144 offset1:160
	ds_load_2addr_b64 v[8:11], v100 offset0:176 offset1:192
	v_mov_b32_e32 v79, v54
	v_add_co_u32 v59, vcc_lo, s2, v51
	ds_load_b64 v[55:56], v102
	ds_load_b64 v[57:58], v100 offset:1664
	ds_load_2addr_b64 v[40:43], v100 offset0:16 offset1:32
	ds_load_2addr_b64 v[44:47], v100 offset0:48 offset1:64
	;; [unrolled: 1-line block ×3, first 2 shown]
	global_wb scope:SCOPE_SE
	s_wait_dscnt 0x0
	s_barrier_signal -1
	s_barrier_wait -1
	global_inv scope:SCOPE_SE
	v_lshlrev_b64_e32 v[53:54], 3, v[78:79]
	v_mul_f32_e32 v60, v73, v1
	v_dual_mul_f32 v61, v73, v0 :: v_dual_mul_f32 v62, v75, v3
	v_mul_f32_e32 v63, v75, v2
	v_mul_f32_e32 v64, v71, v5
	v_dual_mul_f32 v65, v71, v4 :: v_dual_mul_f32 v66, v77, v7
	v_dual_mul_f32 v67, v77, v6 :: v_dual_mul_f32 v68, v83, v9
	v_mul_f32_e32 v69, v83, v8
	v_mul_f32_e32 v71, v81, v11
	;; [unrolled: 1-line block ×4, first 2 shown]
	v_dual_mul_f32 v77, v85, v57 :: v_dual_fmac_f32 v60, v72, v0
	v_fma_f32 v1, v72, v1, -v61
	v_fmac_f32_e32 v62, v74, v2
	v_fma_f32 v3, v74, v3, -v63
	v_fmac_f32_e32 v64, v70, v4
	;; [unrolled: 2-line block ×6, first 2 shown]
	v_fma_f32 v58, v84, v58, -v77
	v_dual_sub_f32 v0, v55, v60 :: v_dual_sub_f32 v1, v56, v1
	v_dual_sub_f32 v2, v40, v62 :: v_dual_sub_f32 v3, v41, v3
	;; [unrolled: 1-line block ×5, first 2 shown]
	v_sub_f32_e32 v10, v48, v71
	v_sub_f32_e32 v11, v49, v11
	v_dual_sub_f32 v57, v50, v75 :: v_dual_sub_f32 v58, v51, v58
	v_fma_f32 v55, v55, 2.0, -v0
	v_fma_f32 v56, v56, 2.0, -v1
	;; [unrolled: 1-line block ×14, first 2 shown]
	ds_store_2addr_b64 v102, v[55:56], v[0:1] offset1:56
	ds_store_b64 v100, v[40:41] offset:128
	ds_store_b64 v102, v[2:3] offset:576
	;; [unrolled: 1-line block ×4, first 2 shown]
	ds_store_2addr_b64 v113, v[44:45], v[6:7] offset1:56
	ds_store_2addr_b64 v102, v[46:47], v[48:49] offset0:120 offset1:136
	ds_store_2addr_b64 v102, v[50:51], v[8:9] offset0:152 offset1:176
	;; [unrolled: 1-line block ×3, first 2 shown]
	global_wb scope:SCOPE_SE
	s_wait_dscnt 0x0
	s_barrier_signal -1
	s_barrier_wait -1
	global_inv scope:SCOPE_SE
	ds_load_2addr_b64 v[5:8], v100 offset0:112 offset1:128
	ds_load_2addr_b64 v[40:43], v100 offset0:144 offset1:160
	;; [unrolled: 1-line block ×3, first 2 shown]
	ds_load_b64 v[9:10], v100 offset:1664
	s_wait_alu 0xfffd
	v_add_co_ci_u32_e32 v1, vcc_lo, s3, v52, vcc_lo
	v_add_co_u32 v0, vcc_lo, v59, v53
	s_mov_b32 s2, 0x92492492
	s_wait_alu 0xfffd
	s_delay_alu instid0(VALU_DEP_2)
	v_add_co_ci_u32_e32 v1, vcc_lo, v1, v54, vcc_lo
	ds_load_b64 v[60:61], v102
	ds_load_2addr_b64 v[48:51], v100 offset0:16 offset1:32
	ds_load_2addr_b64 v[52:55], v100 offset0:48 offset1:64
	;; [unrolled: 1-line block ×3, first 2 shown]
	s_mov_b32 s3, 0x3f724924
	s_wait_alu 0xfffe
	v_add_co_u32 v2, vcc_lo, v0, s0
	s_wait_alu 0xfffd
	v_add_co_ci_u32_e32 v3, vcc_lo, s1, v1, vcc_lo
	s_delay_alu instid0(VALU_DEP_2)
	v_add_co_u32 v4, vcc_lo, v2, s0
	s_wait_dscnt 0x7
	v_mul_f32_e32 v11, v87, v6
	v_dual_mul_f32 v62, v87, v5 :: v_dual_mul_f32 v63, v89, v8
	s_wait_dscnt 0x6
	v_dual_mul_f32 v64, v89, v7 :: v_dual_mul_f32 v65, v91, v41
	v_dual_mul_f32 v66, v91, v40 :: v_dual_mul_f32 v67, v93, v43
	s_wait_dscnt 0x5
	v_dual_mul_f32 v68, v93, v42 :: v_dual_mul_f32 v69, v95, v45
	v_dual_mul_f32 v70, v95, v44 :: v_dual_mul_f32 v71, v97, v47
	v_mul_f32_e32 v72, v97, v46
	s_wait_dscnt 0x4
	v_mul_f32_e32 v73, v99, v10
	v_mul_f32_e32 v74, v99, v9
	v_fmac_f32_e32 v11, v86, v5
	v_fma_f32 v6, v86, v6, -v62
	v_fmac_f32_e32 v63, v88, v7
	v_fma_f32 v8, v88, v8, -v64
	;; [unrolled: 2-line block ×7, first 2 shown]
	s_wait_dscnt 0x3
	v_dual_sub_f32 v5, v60, v11 :: v_dual_sub_f32 v6, v61, v6
	s_wait_dscnt 0x2
	v_dual_sub_f32 v7, v48, v63 :: v_dual_sub_f32 v8, v49, v8
	v_dual_sub_f32 v9, v50, v65 :: v_dual_sub_f32 v10, v51, v40
	s_wait_dscnt 0x1
	v_dual_sub_f32 v40, v52, v67 :: v_dual_sub_f32 v41, v53, v41
	;; [unrolled: 3-line block ×3, first 2 shown]
	v_dual_sub_f32 v46, v58, v73 :: v_dual_sub_f32 v47, v59, v47
	v_fma_f32 v60, v60, 2.0, -v5
	v_fma_f32 v61, v61, 2.0, -v6
	;; [unrolled: 1-line block ×14, first 2 shown]
	ds_store_b64 v102, v[60:61]
	ds_store_2addr_b64 v100, v[5:6], v[7:8] offset0:112 offset1:128
	ds_store_2addr_b64 v100, v[48:49], v[50:51] offset0:16 offset1:32
	;; [unrolled: 1-line block ×6, first 2 shown]
	ds_store_b64 v100, v[46:47] offset:1664
	global_wb scope:SCOPE_SE
	s_wait_dscnt 0x0
	s_barrier_signal -1
	s_barrier_wait -1
	global_inv scope:SCOPE_SE
	ds_load_b64 v[10:11], v102
	ds_load_2addr_b64 v[6:9], v100 offset0:16 offset1:32
	ds_load_2addr_b64 v[40:43], v100 offset0:48 offset1:64
	ds_load_2addr_b64 v[44:47], v100 offset0:80 offset1:96
	ds_load_2addr_b64 v[48:51], v100 offset0:112 offset1:128
	ds_load_2addr_b64 v[52:55], v100 offset0:144 offset1:160
	ds_load_2addr_b64 v[56:59], v100 offset0:176 offset1:192
	ds_load_b64 v[65:66], v100 offset:1664
	s_wait_alu 0xfffd
	v_add_co_ci_u32_e32 v5, vcc_lo, s1, v3, vcc_lo
	v_add_co_u32 v60, vcc_lo, v4, s0
	s_wait_alu 0xfffd
	s_delay_alu instid0(VALU_DEP_2) | instskip(NEXT) | instid1(VALU_DEP_2)
	v_add_co_ci_u32_e32 v61, vcc_lo, s1, v5, vcc_lo
	v_add_co_u32 v62, vcc_lo, v60, s0
	s_wait_alu 0xfffd
	s_delay_alu instid0(VALU_DEP_2) | instskip(NEXT) | instid1(VALU_DEP_2)
	v_add_co_ci_u32_e32 v63, vcc_lo, s1, v61, vcc_lo
	v_add_co_u32 v64, vcc_lo, v62, s0
	s_wait_dscnt 0x7
	v_mul_f32_e32 v67, v13, v11
	v_mul_f32_e32 v13, v13, v10
	s_wait_dscnt 0x6
	v_mul_f32_e32 v68, v25, v9
	v_mul_f32_e32 v25, v25, v8
	;; [unrolled: 3-line block ×4, first 2 shown]
	s_wait_dscnt 0x3
	v_mul_f32_e32 v71, v17, v51
	s_wait_dscnt 0x2
	v_dual_mul_f32 v17, v17, v50 :: v_dual_mul_f32 v72, v35, v55
	v_mul_f32_e32 v35, v35, v54
	v_mul_f32_e32 v74, v23, v7
	;; [unrolled: 1-line block ×3, first 2 shown]
	v_fmac_f32_e32 v67, v12, v10
	v_fma_f32 v10, v12, v11, -v13
	s_wait_dscnt 0x1
	v_dual_mul_f32 v73, v19, v59 :: v_dual_fmac_f32 v74, v22, v6
	v_dual_mul_f32 v19, v19, v58 :: v_dual_fmac_f32 v68, v24, v8
	v_fma_f32 v12, v24, v9, -v25
	v_fmac_f32_e32 v69, v14, v42
	v_fma_f32 v24, v14, v43, -v15
	v_mul_f32_e32 v75, v21, v41
	v_dual_mul_f32 v21, v21, v40 :: v_dual_fmac_f32 v70, v30, v46
	v_fma_f32 v25, v30, v47, -v31
	v_mul_f32_e32 v76, v29, v45
	v_mul_f32_e32 v29, v29, v44
	v_fmac_f32_e32 v71, v16, v50
	v_fma_f32 v30, v16, v51, -v17
	v_mul_f32_e32 v77, v27, v49
	v_dual_mul_f32 v27, v27, v48 :: v_dual_fmac_f32 v72, v34, v54
	v_fma_f32 v31, v34, v55, -v35
	v_fma_f32 v42, v22, v7, -v23
	v_cvt_f64_f32_e32 v[6:7], v67
	v_cvt_f64_f32_e32 v[8:9], v10
	v_mul_f32_e32 v78, v33, v53
	v_mul_f32_e32 v33, v33, v52
	v_fmac_f32_e32 v73, v18, v58
	v_fma_f32 v34, v18, v59, -v19
	v_cvt_f64_f32_e32 v[10:11], v68
	v_cvt_f64_f32_e32 v[12:13], v12
	v_mul_f32_e32 v79, v37, v57
	v_mul_f32_e32 v37, v37, v56
	v_cvt_f64_f32_e32 v[14:15], v69
	v_cvt_f64_f32_e32 v[16:17], v24
	s_wait_dscnt 0x0
	v_mul_f32_e32 v80, v39, v66
	v_mul_f32_e32 v39, v39, v65
	v_fmac_f32_e32 v75, v20, v40
	v_fma_f32 v40, v20, v41, -v21
	v_cvt_f64_f32_e32 v[18:19], v70
	v_cvt_f64_f32_e32 v[20:21], v25
	v_fmac_f32_e32 v76, v28, v44
	v_fma_f32 v44, v28, v45, -v29
	v_cvt_f64_f32_e32 v[22:23], v71
	v_cvt_f64_f32_e32 v[24:25], v30
	v_fmac_f32_e32 v77, v26, v48
	v_fma_f32 v48, v26, v49, -v27
	v_cvt_f64_f32_e32 v[26:27], v72
	v_cvt_f64_f32_e32 v[28:29], v31
	v_fmac_f32_e32 v78, v32, v52
	v_fma_f32 v52, v32, v53, -v33
	v_cvt_f64_f32_e32 v[30:31], v73
	v_cvt_f64_f32_e32 v[32:33], v34
	v_fmac_f32_e32 v79, v36, v56
	v_fma_f32 v56, v36, v57, -v37
	v_cvt_f64_f32_e32 v[34:35], v74
	v_cvt_f64_f32_e32 v[36:37], v42
	v_fmac_f32_e32 v80, v38, v65
	v_fma_f32 v65, v38, v66, -v39
	v_cvt_f64_f32_e32 v[38:39], v75
	v_cvt_f64_f32_e32 v[40:41], v40
	v_cvt_f64_f32_e32 v[42:43], v76
	v_cvt_f64_f32_e32 v[44:45], v44
	;; [unrolled: 1-line block ×10, first 2 shown]
	v_mul_f64_e32 v[6:7], s[2:3], v[6:7]
	v_mul_f64_e32 v[8:9], s[2:3], v[8:9]
	;; [unrolled: 1-line block ×8, first 2 shown]
	s_wait_alu 0xfffd
	v_add_co_ci_u32_e32 v65, vcc_lo, s1, v63, vcc_lo
	v_mul_f64_e32 v[22:23], s[2:3], v[22:23]
	v_mul_f64_e32 v[24:25], s[2:3], v[24:25]
	v_add_co_u32 v68, vcc_lo, v64, s0
	v_mul_f64_e32 v[26:27], s[2:3], v[26:27]
	v_mul_f64_e32 v[28:29], s[2:3], v[28:29]
	s_wait_alu 0xfffd
	v_add_co_ci_u32_e32 v69, vcc_lo, s1, v65, vcc_lo
	v_mul_f64_e32 v[30:31], s[2:3], v[30:31]
	v_mul_f64_e32 v[32:33], s[2:3], v[32:33]
	s_delay_alu instid0(VALU_DEP_3)
	v_mad_co_u64_u32 v[70:71], null, 0xfffffa80, s4, v[68:69]
	v_mul_f64_e32 v[34:35], s[2:3], v[34:35]
	v_mul_f64_e32 v[36:37], s[2:3], v[36:37]
	;; [unrolled: 1-line block ×14, first 2 shown]
	v_cvt_f32_f64_e32 v6, v[6:7]
	v_cvt_f32_f64_e32 v7, v[8:9]
	;; [unrolled: 1-line block ×8, first 2 shown]
	s_mul_i32 s2, s5, 0xfffffa80
	v_add_co_u32 v72, vcc_lo, v70, s0
	v_cvt_f32_f64_e32 v14, v[22:23]
	v_cvt_f32_f64_e32 v15, v[24:25]
	s_wait_alu 0xfffe
	s_sub_co_i32 s2, s2, s4
	v_cvt_f32_f64_e32 v16, v[26:27]
	v_cvt_f32_f64_e32 v17, v[28:29]
	s_wait_alu 0xfffe
	v_add_nc_u32_e32 v71, s2, v71
	v_cvt_f32_f64_e32 v18, v[30:31]
	v_cvt_f32_f64_e32 v19, v[32:33]
	s_wait_alu 0xfffd
	s_delay_alu instid0(VALU_DEP_3)
	v_add_co_ci_u32_e32 v73, vcc_lo, s1, v71, vcc_lo
	v_cvt_f32_f64_e32 v20, v[34:35]
	v_cvt_f32_f64_e32 v21, v[36:37]
	v_add_co_u32 v34, vcc_lo, v72, s0
	v_cvt_f32_f64_e32 v22, v[38:39]
	v_cvt_f32_f64_e32 v23, v[40:41]
	v_cvt_f32_f64_e32 v24, v[42:43]
	v_cvt_f32_f64_e32 v25, v[44:45]
	v_cvt_f32_f64_e32 v26, v[46:47]
	v_cvt_f32_f64_e32 v27, v[48:49]
	v_cvt_f32_f64_e32 v28, v[50:51]
	v_cvt_f32_f64_e32 v29, v[52:53]
	v_cvt_f32_f64_e32 v30, v[54:55]
	v_cvt_f32_f64_e32 v31, v[56:57]
	v_cvt_f32_f64_e32 v32, v[58:59]
	v_cvt_f32_f64_e32 v33, v[66:67]
	s_wait_alu 0xfffd
	v_add_co_ci_u32_e32 v35, vcc_lo, s1, v73, vcc_lo
	v_add_co_u32 v36, vcc_lo, v34, s0
	s_wait_alu 0xfffd
	s_delay_alu instid0(VALU_DEP_2) | instskip(NEXT) | instid1(VALU_DEP_2)
	v_add_co_ci_u32_e32 v37, vcc_lo, s1, v35, vcc_lo
	v_add_co_u32 v38, vcc_lo, v36, s0
	s_wait_alu 0xfffd
	s_delay_alu instid0(VALU_DEP_2) | instskip(NEXT) | instid1(VALU_DEP_2)
	;; [unrolled: 4-line block ×3, first 2 shown]
	v_add_co_ci_u32_e32 v41, vcc_lo, s1, v39, vcc_lo
	v_add_co_u32 v42, vcc_lo, v40, s0
	s_wait_alu 0xfffd
	s_delay_alu instid0(VALU_DEP_2)
	v_add_co_ci_u32_e32 v43, vcc_lo, s1, v41, vcc_lo
	s_clause 0x4
	global_store_b64 v[0:1], v[6:7], off
	global_store_b64 v[2:3], v[8:9], off
	;; [unrolled: 1-line block ×14, first 2 shown]
.LBB0_2:
	s_nop 0
	s_sendmsg sendmsg(MSG_DEALLOC_VGPRS)
	s_endpgm
	.section	.rodata,"a",@progbits
	.p2align	6, 0x0
	.amdhsa_kernel bluestein_single_back_len224_dim1_sp_op_CI_CI
		.amdhsa_group_segment_fixed_size 7168
		.amdhsa_private_segment_fixed_size 0
		.amdhsa_kernarg_size 104
		.amdhsa_user_sgpr_count 2
		.amdhsa_user_sgpr_dispatch_ptr 0
		.amdhsa_user_sgpr_queue_ptr 0
		.amdhsa_user_sgpr_kernarg_segment_ptr 1
		.amdhsa_user_sgpr_dispatch_id 0
		.amdhsa_user_sgpr_private_segment_size 0
		.amdhsa_wavefront_size32 1
		.amdhsa_uses_dynamic_stack 0
		.amdhsa_enable_private_segment 0
		.amdhsa_system_sgpr_workgroup_id_x 1
		.amdhsa_system_sgpr_workgroup_id_y 0
		.amdhsa_system_sgpr_workgroup_id_z 0
		.amdhsa_system_sgpr_workgroup_info 0
		.amdhsa_system_vgpr_workitem_id 0
		.amdhsa_next_free_vgpr 165
		.amdhsa_next_free_sgpr 20
		.amdhsa_reserve_vcc 1
		.amdhsa_float_round_mode_32 0
		.amdhsa_float_round_mode_16_64 0
		.amdhsa_float_denorm_mode_32 3
		.amdhsa_float_denorm_mode_16_64 3
		.amdhsa_fp16_overflow 0
		.amdhsa_workgroup_processor_mode 1
		.amdhsa_memory_ordered 1
		.amdhsa_forward_progress 0
		.amdhsa_round_robin_scheduling 0
		.amdhsa_exception_fp_ieee_invalid_op 0
		.amdhsa_exception_fp_denorm_src 0
		.amdhsa_exception_fp_ieee_div_zero 0
		.amdhsa_exception_fp_ieee_overflow 0
		.amdhsa_exception_fp_ieee_underflow 0
		.amdhsa_exception_fp_ieee_inexact 0
		.amdhsa_exception_int_div_zero 0
	.end_amdhsa_kernel
	.text
.Lfunc_end0:
	.size	bluestein_single_back_len224_dim1_sp_op_CI_CI, .Lfunc_end0-bluestein_single_back_len224_dim1_sp_op_CI_CI
                                        ; -- End function
	.section	.AMDGPU.csdata,"",@progbits
; Kernel info:
; codeLenInByte = 12680
; NumSgprs: 22
; NumVgprs: 165
; ScratchSize: 0
; MemoryBound: 0
; FloatMode: 240
; IeeeMode: 1
; LDSByteSize: 7168 bytes/workgroup (compile time only)
; SGPRBlocks: 2
; VGPRBlocks: 20
; NumSGPRsForWavesPerEU: 22
; NumVGPRsForWavesPerEU: 165
; Occupancy: 9
; WaveLimiterHint : 1
; COMPUTE_PGM_RSRC2:SCRATCH_EN: 0
; COMPUTE_PGM_RSRC2:USER_SGPR: 2
; COMPUTE_PGM_RSRC2:TRAP_HANDLER: 0
; COMPUTE_PGM_RSRC2:TGID_X_EN: 1
; COMPUTE_PGM_RSRC2:TGID_Y_EN: 0
; COMPUTE_PGM_RSRC2:TGID_Z_EN: 0
; COMPUTE_PGM_RSRC2:TIDIG_COMP_CNT: 0
	.text
	.p2alignl 7, 3214868480
	.fill 96, 4, 3214868480
	.type	__hip_cuid_502c26d253b7ea20,@object ; @__hip_cuid_502c26d253b7ea20
	.section	.bss,"aw",@nobits
	.globl	__hip_cuid_502c26d253b7ea20
__hip_cuid_502c26d253b7ea20:
	.byte	0                               ; 0x0
	.size	__hip_cuid_502c26d253b7ea20, 1

	.ident	"AMD clang version 19.0.0git (https://github.com/RadeonOpenCompute/llvm-project roc-6.4.0 25133 c7fe45cf4b819c5991fe208aaa96edf142730f1d)"
	.section	".note.GNU-stack","",@progbits
	.addrsig
	.addrsig_sym __hip_cuid_502c26d253b7ea20
	.amdgpu_metadata
---
amdhsa.kernels:
  - .args:
      - .actual_access:  read_only
        .address_space:  global
        .offset:         0
        .size:           8
        .value_kind:     global_buffer
      - .actual_access:  read_only
        .address_space:  global
        .offset:         8
        .size:           8
        .value_kind:     global_buffer
      - .actual_access:  read_only
        .address_space:  global
        .offset:         16
        .size:           8
        .value_kind:     global_buffer
      - .actual_access:  read_only
        .address_space:  global
        .offset:         24
        .size:           8
        .value_kind:     global_buffer
      - .actual_access:  read_only
        .address_space:  global
        .offset:         32
        .size:           8
        .value_kind:     global_buffer
      - .offset:         40
        .size:           8
        .value_kind:     by_value
      - .address_space:  global
        .offset:         48
        .size:           8
        .value_kind:     global_buffer
      - .address_space:  global
        .offset:         56
        .size:           8
        .value_kind:     global_buffer
      - .address_space:  global
        .offset:         64
        .size:           8
        .value_kind:     global_buffer
      - .address_space:  global
        .offset:         72
        .size:           8
        .value_kind:     global_buffer
      - .offset:         80
        .size:           4
        .value_kind:     by_value
      - .address_space:  global
        .offset:         88
        .size:           8
        .value_kind:     global_buffer
      - .address_space:  global
        .offset:         96
        .size:           8
        .value_kind:     global_buffer
    .group_segment_fixed_size: 7168
    .kernarg_segment_align: 8
    .kernarg_segment_size: 104
    .language:       OpenCL C
    .language_version:
      - 2
      - 0
    .max_flat_workgroup_size: 64
    .name:           bluestein_single_back_len224_dim1_sp_op_CI_CI
    .private_segment_fixed_size: 0
    .sgpr_count:     22
    .sgpr_spill_count: 0
    .symbol:         bluestein_single_back_len224_dim1_sp_op_CI_CI.kd
    .uniform_work_group_size: 1
    .uses_dynamic_stack: false
    .vgpr_count:     165
    .vgpr_spill_count: 0
    .wavefront_size: 32
    .workgroup_processor_mode: 1
amdhsa.target:   amdgcn-amd-amdhsa--gfx1201
amdhsa.version:
  - 1
  - 2
...

	.end_amdgpu_metadata
